;; amdgpu-corpus repo=ROCm/rocFFT kind=compiled arch=gfx1100 opt=O3
	.text
	.amdgcn_target "amdgcn-amd-amdhsa--gfx1100"
	.amdhsa_code_object_version 6
	.protected	bluestein_single_back_len1920_dim1_dp_op_CI_CI ; -- Begin function bluestein_single_back_len1920_dim1_dp_op_CI_CI
	.globl	bluestein_single_back_len1920_dim1_dp_op_CI_CI
	.p2align	8
	.type	bluestein_single_back_len1920_dim1_dp_op_CI_CI,@function
bluestein_single_back_len1920_dim1_dp_op_CI_CI: ; @bluestein_single_back_len1920_dim1_dp_op_CI_CI
; %bb.0:
	s_load_b128 s[16:19], s[0:1], 0x28
	v_mul_u32_u24_e32 v1, 0x223, v0
	v_mov_b32_e32 v13, 0
	s_mov_b32 s2, exec_lo
	s_delay_alu instid0(VALU_DEP_2) | instskip(NEXT) | instid1(VALU_DEP_1)
	v_lshrrev_b32_e32 v3, 16, v1
	v_lshl_add_u32 v12, s15, 1, v3
	s_waitcnt lgkmcnt(0)
	s_delay_alu instid0(VALU_DEP_1)
	v_cmpx_gt_u64_e64 s[16:17], v[12:13]
	s_cbranch_execz .LBB0_23
; %bb.1:
	s_clause 0x1
	s_load_b128 s[4:7], s[0:1], 0x18
	s_load_b64 s[12:13], s[0:1], 0x0
	v_mul_lo_u16 v1, 0x78, v3
	v_dual_mov_b32 v10, v12 :: v_dual_and_b32 v3, 1, v3
	s_delay_alu instid0(VALU_DEP_2) | instskip(NEXT) | instid1(VALU_DEP_1)
	v_sub_nc_u16 v2, v0, v1
	v_and_b32_e32 v178, 0xffff, v2
	s_delay_alu instid0(VALU_DEP_1)
	v_lshlrev_b32_e32 v19, 4, v178
	v_or_b32_e32 v14, 0x180, v178
	v_or_b32_e32 v18, 0x300, v178
	s_waitcnt lgkmcnt(0)
	s_load_b128 s[8:11], s[4:5], 0x0
	s_clause 0x1
	global_load_b128 v[100:103], v19, s[12:13]
	global_load_b128 v[96:99], v19, s[12:13] offset:3072
	v_add_co_u32 v16, s2, s12, v19
	s_delay_alu instid0(VALU_DEP_1) | instskip(SKIP_1) | instid1(VALU_DEP_3)
	v_add_co_ci_u32_e64 v17, null, s13, 0, s2
	v_lshlrev_b32_e32 v4, 4, v14
	v_add_co_u32 v0, vcc_lo, 0x2000, v16
	s_delay_alu instid0(VALU_DEP_3)
	v_add_co_ci_u32_e32 v1, vcc_lo, 0, v17, vcc_lo
	global_load_b128 v[92:95], v4, s[12:13]
	s_clause 0x2
	scratch_store_b64 off, v[10:11], off offset:20
	scratch_store_b32 off, v14, off offset:44
	scratch_store_b64 off, v[0:1], off offset:12
	global_load_b128 v[88:91], v[0:1], off offset:1024
	scratch_store_b32 off, v4, off offset:228 ; 4-byte Folded Spill
	s_waitcnt lgkmcnt(0)
	v_mad_u64_u32 v[0:1], null, s10, v12, 0
	v_mad_u64_u32 v[8:9], null, s8, v18, 0
	;; [unrolled: 1-line block ×3, first 2 shown]
	s_mul_i32 s3, s9, 0xc0
	s_mul_hi_u32 s4, s8, 0xc0
	s_delay_alu instid0(VALU_DEP_3) | instskip(NEXT) | instid1(VALU_DEP_3)
	v_mad_u64_u32 v[10:11], null, s11, v12, v[1:2]
	v_mov_b32_e32 v1, v9
	v_mad_u64_u32 v[4:5], null, s8, v178, 0
	v_or_b32_e32 v33, 0x480, v178
	v_or_b32_e32 v37, 0x600, v178
	s_mul_i32 s2, s8, 0xc0
	s_add_i32 s3, s4, s3
	s_mul_i32 s5, s9, 0x1800
	v_mad_u64_u32 v[24:25], null, s8, v33, 0
	s_delay_alu instid0(VALU_DEP_4) | instskip(SKIP_2) | instid1(VALU_DEP_4)
	v_mad_u64_u32 v[11:12], null, s9, v178, v[5:6]
	v_mad_u64_u32 v[12:13], null, s9, v14, v[7:8]
	;; [unrolled: 1-line block ×3, first 2 shown]
	v_dual_mov_b32 v1, v10 :: v_dual_mov_b32 v10, v25
	s_delay_alu instid0(VALU_DEP_4) | instskip(SKIP_1) | instid1(VALU_DEP_3)
	v_mov_b32_e32 v5, v11
	v_mad_u64_u32 v[29:30], null, s8, v37, 0
	v_lshlrev_b64 v[0:1], 4, v[0:1]
	v_mov_b32_e32 v7, v12
	s_delay_alu instid0(VALU_DEP_4)
	v_lshlrev_b64 v[4:5], 4, v[4:5]
	v_mov_b32_e32 v9, v13
	s_lshl_b64 s[14:15], s[2:3], 4
	s_mul_hi_u32 s10, s8, 0x1800
	v_add_co_u32 v31, vcc_lo, s18, v0
	v_add_co_ci_u32_e32 v32, vcc_lo, s19, v1, vcc_lo
	v_lshlrev_b64 v[0:1], 4, v[6:7]
	s_delay_alu instid0(VALU_DEP_3) | instskip(NEXT) | instid1(VALU_DEP_3)
	v_add_co_u32 v11, vcc_lo, v31, v4
	v_add_co_ci_u32_e32 v12, vcc_lo, v32, v5, vcc_lo
	v_lshlrev_b64 v[25:26], 4, v[8:9]
	s_delay_alu instid0(VALU_DEP_4)
	v_add_co_u32 v0, vcc_lo, v31, v0
	v_add_co_ci_u32_e32 v1, vcc_lo, v32, v1, vcc_lo
	v_add_co_u32 v20, vcc_lo, v11, s14
	v_add_co_ci_u32_e32 v21, vcc_lo, s15, v12, vcc_lo
	s_mul_i32 s16, s8, 0x1800
	s_add_i32 s10, s10, s5
	v_mad_u64_u32 v[22:23], null, s9, v33, v[10:11]
	s_clause 0x2
	global_load_b128 v[4:7], v[0:1], off
	global_load_b128 v[8:11], v[11:12], off
	;; [unrolled: 1-line block ×3, first 2 shown]
	v_add_co_u32 v0, vcc_lo, v20, s16
	v_add_co_ci_u32_e32 v1, vcc_lo, s10, v21, vcc_lo
	v_add_co_u32 v27, vcc_lo, v31, v25
	scratch_store_b32 off, v18, off offset:56 ; 4-byte Folded Spill
	v_lshlrev_b32_e32 v18, 4, v18
	v_add_co_ci_u32_e32 v28, vcc_lo, v32, v26, vcc_lo
	v_mov_b32_e32 v25, v22
	s_clause 0x1
	global_load_b128 v[20:23], v[0:1], off
	global_load_b128 v[40:43], v[27:28], off
	v_lshlrev_b32_e32 v28, 4, v33
	s_clause 0x1
	scratch_store_b32 off, v18, off offset:272
	scratch_store_b32 off, v33, off offset:124
	global_load_b128 v[104:107], v18, s[12:13]
	v_mov_b32_e32 v18, v30
	v_lshlrev_b64 v[24:25], 4, v[24:25]
	v_add_co_u32 v0, vcc_lo, v0, s16
	v_add_co_ci_u32_e32 v1, vcc_lo, s10, v1, vcc_lo
	s_delay_alu instid0(VALU_DEP_4) | instskip(NEXT) | instid1(VALU_DEP_4)
	v_mad_u64_u32 v[26:27], null, s9, v37, v[18:19]
	v_add_co_u32 v24, vcc_lo, v31, v24
	v_add_co_ci_u32_e32 v25, vcc_lo, v32, v25, vcc_lo
	v_add_co_u32 v35, vcc_lo, 0x3000, v16
	s_delay_alu instid0(VALU_DEP_4)
	v_mov_b32_e32 v30, v26
	v_add_co_ci_u32_e32 v36, vcc_lo, 0, v17, vcc_lo
	s_clause 0x1
	global_load_b128 v[44:47], v[0:1], off
	global_load_b128 v[48:51], v[24:25], off
	v_add_co_u32 v33, vcc_lo, 0x5000, v16
	v_lshlrev_b64 v[24:25], 4, v[29:30]
	v_add_co_ci_u32_e32 v34, vcc_lo, 0, v17, vcc_lo
	v_add_co_u32 v26, vcc_lo, v0, s16
	v_add_co_ci_u32_e32 v27, vcc_lo, s10, v1, vcc_lo
	s_delay_alu instid0(VALU_DEP_4)
	v_add_co_u32 v24, vcc_lo, v31, v24
	v_add_co_ci_u32_e32 v25, vcc_lo, v32, v25, vcc_lo
	s_clause 0x1
	global_load_b128 v[108:111], v28, s[12:13]
	global_load_b128 v[112:115], v[33:34], off offset:1024
	s_clause 0x2
	scratch_store_b64 off, v[35:36], off offset:48
	scratch_store_b32 off, v37, off offset:160
	scratch_store_b32 off, v28, off offset:268
	v_add_co_u32 v28, vcc_lo, 0x6000, v16
	v_add_co_ci_u32_e32 v29, vcc_lo, 0, v17, vcc_lo
	v_lshlrev_b32_e32 v18, 4, v37
	v_add_co_u32 v0, vcc_lo, v26, s16
	global_load_b128 v[116:119], v[35:36], off offset:3072
	v_add_co_ci_u32_e32 v1, vcc_lo, s10, v27, vcc_lo
	scratch_store_b64 off, v[33:34], off offset:28 ; 8-byte Folded Spill
	s_clause 0x1
	global_load_b128 v[52:55], v[26:27], off
	global_load_b128 v[56:59], v[24:25], off
	s_clause 0x1
	scratch_store_b32 off, v18, off offset:276
	scratch_store_b64 off, v[28:29], off offset:36
	s_clause 0x1
	global_load_b128 v[120:123], v18, s[12:13]
	global_load_b128 v[124:127], v[28:29], off offset:3072
	global_load_b128 v[60:63], v[0:1], off
	v_cmp_eq_u32_e32 vcc_lo, 1, v3
	v_cndmask_b32_e64 v179, 0, 0x780, vcc_lo
	v_cmp_gt_u16_e32 vcc_lo, 0x48, v2
	s_delay_alu instid0(VALU_DEP_2)
	v_or_b32_e32 v3, v179, v178
	v_lshl_add_u32 v18, v179, 4, v19
	s_waitcnt vmcnt(19)
	scratch_store_b128 off, v[100:103], off offset:108 ; 16-byte Folded Spill
	s_waitcnt vmcnt(18)
	scratch_store_b128 off, v[96:99], off offset:92 ; 16-byte Folded Spill
	s_waitcnt vmcnt(17)
	scratch_store_b128 off, v[92:95], off offset:76 ; 16-byte Folded Spill
	s_waitcnt vmcnt(16)
	scratch_store_b128 off, v[88:91], off offset:60 ; 16-byte Folded Spill
	s_waitcnt vmcnt(15)
	v_mul_f64 v[28:29], v[6:7], v[94:95]
	s_waitcnt vmcnt(14)
	v_mul_f64 v[24:25], v[10:11], v[102:103]
	v_mul_f64 v[26:27], v[8:9], v[102:103]
	s_waitcnt vmcnt(13)
	v_mul_f64 v[32:33], v[14:15], v[98:99]
	v_mul_f64 v[34:35], v[12:13], v[98:99]
	;; [unrolled: 1-line block ×3, first 2 shown]
	s_waitcnt vmcnt(12)
	v_mul_f64 v[36:37], v[22:23], v[90:91]
	v_mul_f64 v[38:39], v[20:21], v[90:91]
	s_waitcnt vmcnt(10)
	v_mul_f64 v[64:65], v[42:43], v[106:107]
	v_mul_f64 v[66:67], v[40:41], v[106:107]
	scratch_store_b128 off, v[104:107], off offset:128 ; 16-byte Folded Spill
	v_fma_f64 v[4:5], v[4:5], v[92:93], v[28:29]
	v_fma_f64 v[8:9], v[8:9], v[100:101], v[24:25]
	v_fma_f64 v[10:11], v[10:11], v[100:101], -v[26:27]
	v_fma_f64 v[12:13], v[12:13], v[96:97], v[32:33]
	v_fma_f64 v[14:15], v[14:15], v[96:97], -v[34:35]
	v_fma_f64 v[6:7], v[6:7], v[92:93], -v[30:31]
	v_lshlrev_b32_e32 v24, 4, v3
	s_waitcnt vmcnt(7)
	scratch_store_b128 off, v[108:111], off offset:144 ; 16-byte Folded Spill
	v_mul_f64 v[72:73], v[50:51], v[110:111]
	v_mul_f64 v[74:75], v[48:49], v[110:111]
	v_fma_f64 v[20:21], v[20:21], v[88:89], v[36:37]
	v_fma_f64 v[22:23], v[22:23], v[88:89], -v[38:39]
	s_waitcnt vmcnt(6)
	scratch_store_b128 off, v[112:115], off offset:164 ; 16-byte Folded Spill
	v_fma_f64 v[40:41], v[40:41], v[104:105], v[64:65]
	v_fma_f64 v[42:43], v[42:43], v[104:105], -v[66:67]
	s_waitcnt vmcnt(5)
	v_mul_f64 v[68:69], v[46:47], v[118:119]
	v_mul_f64 v[70:71], v[44:45], v[118:119]
	scratch_store_b128 off, v[116:119], off offset:180 ; 16-byte Folded Spill
	s_waitcnt vmcnt(4)
	v_mul_f64 v[76:77], v[54:55], v[114:115]
	v_mul_f64 v[78:79], v[52:53], v[114:115]
	s_waitcnt vmcnt(2)
	v_mul_f64 v[80:81], v[58:59], v[122:123]
	v_mul_f64 v[82:83], v[56:57], v[122:123]
	;; [unrolled: 3-line block ×3, first 2 shown]
	s_clause 0x1
	scratch_store_b128 off, v[120:123], off offset:196
	scratch_store_b128 off, v[124:127], off offset:212
	s_load_b64 s[10:11], s[0:1], 0x38
	s_load_b128 s[4:7], s[6:7], 0x0
	scratch_store_b32 off, v24, off         ; 4-byte Folded Spill
	ds_store_b128 v24, v[8:11]
	ds_store_b128 v18, v[12:15] offset:3072
	ds_store_b128 v18, v[4:7] offset:6144
	ds_store_b128 v18, v[20:23] offset:9216
	ds_store_b128 v18, v[40:43] offset:12288
	v_fma_f64 v[48:49], v[48:49], v[108:109], v[72:73]
	v_fma_f64 v[50:51], v[50:51], v[108:109], -v[74:75]
	v_fma_f64 v[44:45], v[44:45], v[116:117], v[68:69]
	v_fma_f64 v[46:47], v[46:47], v[116:117], -v[70:71]
	;; [unrolled: 2-line block ×5, first 2 shown]
	ds_store_b128 v18, v[44:47] offset:15360
	ds_store_b128 v18, v[48:51] offset:18432
	;; [unrolled: 1-line block ×5, first 2 shown]
	s_and_saveexec_b32 s3, vcc_lo
	s_cbranch_execz .LBB0_3
; %bb.2:
	scratch_load_b64 v[4:5], off, off offset:12 ; 8-byte Folded Reload
	v_mad_u64_u32 v[20:21], null, 0xffff9b80, s8, v[0:1]
	s_mul_i32 s2, s9, 0xffff9b80
	global_load_b128 v[0:3], v[16:17], off offset:1920
	s_sub_i32 s2, s2, s8
	s_delay_alu instid0(SALU_CYCLE_1) | instskip(SKIP_1) | instid1(VALU_DEP_1)
	v_add_nc_u32_e32 v21, s2, v21
	v_add_co_u32 v24, s2, v20, s14
	v_add_co_ci_u32_e64 v25, s2, s15, v21, s2
	v_add_co_u32 v12, s2, 0x1000, v16
	s_delay_alu instid0(VALU_DEP_1) | instskip(NEXT) | instid1(VALU_DEP_4)
	v_add_co_ci_u32_e64 v13, s2, 0, v17, s2
	v_add_co_u32 v26, s2, v24, s14
	s_delay_alu instid0(VALU_DEP_1) | instskip(NEXT) | instid1(VALU_DEP_2)
	v_add_co_ci_u32_e64 v27, s2, s15, v25, s2
	v_add_co_u32 v28, s2, v26, s14
	s_delay_alu instid0(VALU_DEP_1) | instskip(NEXT) | instid1(VALU_DEP_2)
	v_add_co_ci_u32_e64 v29, s2, s15, v27, s2
	v_add_co_u32 v30, s2, v28, s14
	s_delay_alu instid0(VALU_DEP_1)
	v_add_co_ci_u32_e64 v31, s2, s15, v29, s2
	s_waitcnt vmcnt(1)
	s_clause 0x2
	global_load_b128 v[4:7], v[4:5], off offset:2944
	global_load_b128 v[8:11], v[12:13], off offset:896
	;; [unrolled: 1-line block ×3, first 2 shown]
	global_load_b128 v[20:23], v[20:21], off
	global_load_b128 v[40:43], v[24:25], off
	;; [unrolled: 1-line block ×5, first 2 shown]
	scratch_load_b64 v[26:27], off, off offset:48 ; 8-byte Folded Reload
	v_add_co_u32 v24, s2, v30, s14
	s_delay_alu instid0(VALU_DEP_1)
	v_add_co_ci_u32_e64 v25, s2, s15, v31, s2
	s_waitcnt vmcnt(2)
	v_mul_f64 v[32:33], v[48:49], v[6:7]
	s_waitcnt vmcnt(0)
	global_load_b128 v[56:59], v[26:27], off offset:1920
	v_add_co_u32 v26, s2, v24, s14
	s_delay_alu instid0(VALU_DEP_1) | instskip(SKIP_1) | instid1(VALU_DEP_1)
	v_add_co_ci_u32_e64 v27, s2, s15, v25, s2
	v_add_co_u32 v28, s2, 0x4000, v16
	v_add_co_ci_u32_e64 v29, s2, 0, v17, s2
	s_delay_alu instid0(VALU_DEP_4) | instskip(NEXT) | instid1(VALU_DEP_1)
	v_add_co_u32 v30, s2, v26, s14
	v_add_co_ci_u32_e64 v31, s2, s15, v27, s2
	global_load_b128 v[60:63], v[24:25], off
	global_load_b128 v[64:67], v[26:27], off
	s_clause 0x1
	global_load_b128 v[68:71], v[28:29], off offset:896
	global_load_b128 v[72:75], v[28:29], off offset:3968
	global_load_b128 v[76:79], v[30:31], off
	v_add_co_u32 v24, s2, v30, s14
	s_delay_alu instid0(VALU_DEP_1) | instskip(SKIP_2) | instid1(VALU_DEP_1)
	v_add_co_ci_u32_e64 v25, s2, s15, v31, s2
	scratch_load_b64 v[30:31], off, off offset:28 ; 8-byte Folded Reload
	v_add_co_u32 v26, s2, 0x7000, v16
	v_add_co_ci_u32_e64 v27, s2, 0, v17, s2
	v_add_co_u32 v28, s2, v24, s14
	s_delay_alu instid0(VALU_DEP_1)
	v_add_co_ci_u32_e64 v29, s2, s15, v25, s2
	s_waitcnt vmcnt(0)
	global_load_b128 v[80:83], v[30:31], off offset:2944
	global_load_b128 v[84:87], v[24:25], off
	scratch_load_b64 v[24:25], off, off offset:36 ; 8-byte Folded Reload
	v_mul_f64 v[30:31], v[50:51], v[6:7]
	v_mul_f64 v[34:35], v[54:55], v[58:59]
	v_mul_f64 v[36:37], v[52:53], v[58:59]
	v_mul_f64 v[38:39], v[62:63], v[70:71]
	v_mul_f64 v[58:59], v[60:61], v[70:71]
	v_mul_f64 v[70:71], v[66:67], v[74:75]
	v_mul_f64 v[74:75], v[64:65], v[74:75]
	s_waitcnt vmcnt(0)
	s_clause 0x1
	global_load_b128 v[88:91], v[24:25], off offset:1920
	global_load_b128 v[92:95], v[26:27], off offset:896
	global_load_b128 v[96:99], v[28:29], off
	v_mul_f64 v[24:25], v[22:23], v[2:3]
	v_mul_f64 v[2:3], v[20:21], v[2:3]
	;; [unrolled: 1-line block ×8, first 2 shown]
	v_fma_f64 v[20:21], v[20:21], v[0:1], v[24:25]
	v_fma_f64 v[22:23], v[22:23], v[0:1], -v[2:3]
	v_fma_f64 v[0:1], v[40:41], v[8:9], v[26:27]
	v_fma_f64 v[2:3], v[42:43], v[8:9], -v[10:11]
	;; [unrolled: 2-line block ×8, first 2 shown]
	s_waitcnt vmcnt(2)
	v_mul_f64 v[102:103], v[86:87], v[90:91]
	v_mul_f64 v[90:91], v[84:85], v[90:91]
	s_waitcnt vmcnt(0)
	v_mul_f64 v[104:105], v[98:99], v[94:95]
	v_mul_f64 v[94:95], v[96:97], v[94:95]
	s_delay_alu instid0(VALU_DEP_4) | instskip(NEXT) | instid1(VALU_DEP_4)
	v_fma_f64 v[56:57], v[84:85], v[88:89], v[102:103]
	v_fma_f64 v[58:59], v[86:87], v[88:89], -v[90:91]
	s_delay_alu instid0(VALU_DEP_4) | instskip(NEXT) | instid1(VALU_DEP_4)
	v_fma_f64 v[60:61], v[96:97], v[92:93], v[104:105]
	v_fma_f64 v[62:63], v[98:99], v[92:93], -v[94:95]
	ds_store_b128 v18, v[20:23] offset:1920
	ds_store_b128 v18, v[0:3] offset:4992
	;; [unrolled: 1-line block ×10, first 2 shown]
.LBB0_3:
	s_or_b32 exec_lo, exec_lo, s3
	s_waitcnt lgkmcnt(0)
	s_waitcnt_vscnt null, 0x0
	s_barrier
	buffer_gl0_inv
	scratch_load_b32 v0, off, off           ; 4-byte Folded Reload
                                        ; implicit-def: $vgpr48_vgpr49
                                        ; implicit-def: $vgpr96_vgpr97
                                        ; implicit-def: $vgpr64_vgpr65
                                        ; implicit-def: $vgpr100_vgpr101
                                        ; implicit-def: $vgpr84_vgpr85
                                        ; implicit-def: $vgpr92_vgpr93
                                        ; implicit-def: $vgpr44_vgpr45
                                        ; implicit-def: $vgpr80_vgpr81
                                        ; implicit-def: $vgpr40_vgpr41
                                        ; implicit-def: $vgpr60_vgpr61
	s_waitcnt vmcnt(0)
	ds_load_b128 v[8:11], v0
	ds_load_b128 v[76:79], v18 offset:3072
	ds_load_b128 v[4:7], v18 offset:6144
	;; [unrolled: 1-line block ×9, first 2 shown]
	s_and_saveexec_b32 s2, vcc_lo
	s_cbranch_execz .LBB0_5
; %bb.4:
	ds_load_b128 v[60:63], v18 offset:1920
	ds_load_b128 v[40:43], v18 offset:4992
	ds_load_b128 v[80:83], v18 offset:8064
	ds_load_b128 v[44:47], v18 offset:11136
	ds_load_b128 v[92:95], v18 offset:14208
	ds_load_b128 v[48:51], v18 offset:17280
	ds_load_b128 v[96:99], v18 offset:20352
	ds_load_b128 v[64:67], v18 offset:23424
	ds_load_b128 v[100:103], v18 offset:26496
	ds_load_b128 v[84:87], v18 offset:29568
.LBB0_5:
	s_or_b32 exec_lo, exec_lo, s2
	s_waitcnt lgkmcnt(3)
	v_add_f64 v[12:13], v[0:1], v[104:105]
	v_add_f64 v[31:32], v[4:5], -v[0:1]
	v_add_f64 v[33:34], v[0:1], -v[4:5]
	s_waitcnt lgkmcnt(1)
	v_add_f64 v[35:36], v[4:5], -v[88:89]
	v_add_f64 v[112:113], v[0:1], -v[104:105]
	v_add_f64 v[29:30], v[6:7], -v[90:91]
	v_add_f64 v[37:38], v[6:7], -v[2:3]
	v_add_f64 v[108:109], v[2:3], -v[6:7]
	v_add_f64 v[110:111], v[2:3], -v[106:107]
	v_add_f64 v[114:115], v[88:89], -v[104:105]
	v_add_f64 v[116:117], v[90:91], -v[106:107]
	v_add_f64 v[122:123], v[68:69], -v[72:73]
	v_add_f64 v[128:129], v[68:69], -v[56:57]
	v_add_f64 v[124:125], v[74:75], -v[70:71]
	v_add_f64 v[126:127], v[70:71], -v[58:59]
	v_mul_lo_u16 v19, v178, 10
	s_mov_b32 s18, 0x134454ff
	s_mov_b32 s19, 0x3fee6f0e
	v_add_f64 v[140:141], v[80:81], -v[100:101]
	v_add_f64 v[142:143], v[80:81], -v[92:93]
	v_and_b32_e32 v19, 0xffff, v19
	v_add_f64 v[144:145], v[92:93], -v[80:81]
	v_add_f64 v[150:151], v[100:101], -v[96:97]
	s_waitcnt lgkmcnt(0)
	s_barrier
	v_add_lshl_u32 v20, v179, v19, 4
	buffer_gl0_inv
	s_mov_b32 s2, 0x4755a5e
	s_mov_b32 s3, 0x3fe2cf23
	s_mov_b32 s21, 0xbfee6f0e
	s_mov_b32 s20, s18
	v_add_f64 v[138:139], v[82:83], -v[102:103]
	v_add_f64 v[146:147], v[82:83], -v[94:95]
	;; [unrolled: 1-line block ×4, first 2 shown]
	s_mov_b32 s14, 0x372fe950
	s_mov_b32 s15, 0x3fd3c6ef
	;; [unrolled: 1-line block ×3, first 2 shown]
	v_fma_f64 v[21:22], v[12:13], -0.5, v[8:9]
	v_add_f64 v[12:13], v[4:5], v[88:89]
	s_mov_b32 s8, s2
	s_mov_b32 s16, 0x9b97f4a8
	;; [unrolled: 1-line block ×3, first 2 shown]
	v_add_f64 v[160:161], v[48:49], -v[64:65]
	v_add_f64 v[162:163], v[44:45], -v[48:49]
	;; [unrolled: 1-line block ×4, first 2 shown]
	v_add_f64 v[31:32], v[31:32], v[114:115]
	v_add_f64 v[37:38], v[37:38], v[116:117]
	v_add_f64 v[166:167], v[46:47], -v[50:51]
	v_add_f64 v[168:169], v[50:51], -v[46:47]
	;; [unrolled: 1-line block ×6, first 2 shown]
	v_fma_f64 v[23:24], v[12:13], -0.5, v[8:9]
	v_add_f64 v[12:13], v[2:3], v[106:107]
	v_add_f64 v[8:9], v[8:9], v[4:5]
	s_delay_alu instid0(VALU_DEP_2) | instskip(SKIP_1) | instid1(VALU_DEP_3)
	v_fma_f64 v[25:26], v[12:13], -0.5, v[10:11]
	v_add_f64 v[12:13], v[6:7], v[90:91]
	v_add_f64 v[4:5], v[8:9], v[0:1]
	s_delay_alu instid0(VALU_DEP_2) | instskip(SKIP_1) | instid1(VALU_DEP_3)
	v_fma_f64 v[27:28], v[12:13], -0.5, v[10:11]
	v_add_f64 v[10:11], v[10:11], v[6:7]
	v_add_f64 v[0:1], v[4:5], v[104:105]
	v_add_f64 v[104:105], v[104:105], -v[88:89]
	v_add_f64 v[4:5], v[48:49], v[64:65]
	s_delay_alu instid0(VALU_DEP_4) | instskip(NEXT) | instid1(VALU_DEP_4)
	v_add_f64 v[6:7], v[10:11], v[2:3]
	v_add_f64 v[12:13], v[0:1], v[88:89]
	;; [unrolled: 1-line block ×4, first 2 shown]
	s_delay_alu instid0(VALU_DEP_4) | instskip(SKIP_1) | instid1(VALU_DEP_4)
	v_add_f64 v[2:3], v[6:7], v[106:107]
	v_add_f64 v[106:107], v[106:107], -v[90:91]
	v_fma_f64 v[88:89], v[0:1], -0.5, v[76:77]
	v_add_f64 v[0:1], v[72:73], v[52:53]
	v_add_f64 v[6:7], v[46:47], v[42:43]
	;; [unrolled: 1-line block ×4, first 2 shown]
	s_delay_alu instid0(VALU_DEP_4) | instskip(SKIP_2) | instid1(VALU_DEP_4)
	v_fma_f64 v[90:91], v[0:1], -0.5, v[76:77]
	v_add_f64 v[0:1], v[74:75], v[54:55]
	v_add_f64 v[6:7], v[50:51], v[6:7]
	;; [unrolled: 1-line block ×3, first 2 shown]
	s_delay_alu instid0(VALU_DEP_3) | instskip(SKIP_1) | instid1(VALU_DEP_4)
	v_fma_f64 v[118:119], v[0:1], -0.5, v[78:79]
	v_add_f64 v[0:1], v[70:71], v[58:59]
	v_add_f64 v[6:7], v[66:67], v[6:7]
	s_delay_alu instid0(VALU_DEP_4) | instskip(NEXT) | instid1(VALU_DEP_3)
	v_add_f64 v[2:3], v[2:3], v[58:59]
	v_fma_f64 v[120:121], v[0:1], -0.5, v[78:79]
	v_add_f64 v[0:1], v[76:77], v[72:73]
	v_add_f64 v[78:79], v[72:73], -v[68:69]
	v_add_f64 v[72:73], v[72:73], -v[52:53]
	;; [unrolled: 1-line block ×6, first 2 shown]
	v_add_f64 v[6:7], v[86:87], v[6:7]
	v_add_f64 v[54:55], v[2:3], v[54:55]
	;; [unrolled: 1-line block ×4, first 2 shown]
	v_add_f64 v[68:69], v[52:53], -v[56:57]
	v_add_f64 v[58:59], v[74:75], v[58:59]
	v_add_f64 v[10:11], v[14:15], v[54:55]
	;; [unrolled: 1-line block ×3, first 2 shown]
	v_add_f64 v[14:15], v[14:15], -v[54:55]
	v_add_f64 v[54:55], v[124:125], v[70:71]
	v_add_f64 v[0:1], v[0:1], v[56:57]
	v_add_f64 v[56:57], v[56:57], -v[52:53]
	v_add_f64 v[2:3], v[98:99], v[2:3]
	s_delay_alu instid0(VALU_DEP_3) | instskip(SKIP_1) | instid1(VALU_DEP_4)
	v_add_f64 v[52:53], v[0:1], v[52:53]
	v_add_f64 v[0:1], v[96:97], v[92:93]
	;; [unrolled: 1-line block ×3, first 2 shown]
	s_delay_alu instid0(VALU_DEP_4) | instskip(NEXT) | instid1(VALU_DEP_4)
	v_add_f64 v[2:3], v[102:103], v[2:3]
	v_add_f64 v[8:9], v[12:13], v[52:53]
	s_delay_alu instid0(VALU_DEP_4)
	v_fma_f64 v[130:131], v[0:1], -0.5, v[60:61]
	v_add_f64 v[0:1], v[100:101], v[80:81]
	v_add_f64 v[12:13], v[12:13], -v[52:53]
	v_add_f64 v[52:53], v[78:79], v[68:69]
	ds_store_b128 v20, v[8:11]
	v_fma_f64 v[8:9], v[76:77], s[18:19], v[88:89]
	v_fma_f64 v[132:133], v[0:1], -0.5, v[60:61]
	ds_store_b128 v20, v[12:15] offset:80
	v_add_f64 v[0:1], v[98:99], v[94:95]
	v_add_f64 v[94:95], v[94:95], -v[98:99]
	v_add_f64 v[98:99], v[98:99], -v[102:103]
	v_fma_f64 v[10:11], v[72:73], s[20:21], v[120:121]
	v_add_f64 v[12:13], v[174:175], v[162:163]
	v_add_f64 v[14:15], v[176:177], v[166:167]
	v_fma_f64 v[8:9], v[126:127], s[2:3], v[8:9]
	v_fma_f64 v[134:135], v[0:1], -0.5, v[62:63]
	v_add_f64 v[0:1], v[102:103], v[82:83]
	v_fma_f64 v[10:11], v[128:129], s[8:9], v[10:11]
	s_delay_alu instid0(VALU_DEP_4) | instskip(NEXT) | instid1(VALU_DEP_3)
	v_fma_f64 v[8:9], v[52:53], s[14:15], v[8:9]
	v_fma_f64 v[136:137], v[0:1], -0.5, v[62:63]
	v_add_f64 v[0:1], v[80:81], v[60:61]
	s_delay_alu instid0(VALU_DEP_4) | instskip(NEXT) | instid1(VALU_DEP_2)
	v_fma_f64 v[10:11], v[54:55], s[14:15], v[10:11]
	v_add_f64 v[0:1], v[92:93], v[0:1]
	v_add_f64 v[92:93], v[92:93], -v[96:97]
	s_delay_alu instid0(VALU_DEP_2) | instskip(SKIP_1) | instid1(VALU_DEP_2)
	v_add_f64 v[0:1], v[96:97], v[0:1]
	v_add_f64 v[96:97], v[96:97], -v[100:101]
	v_add_f64 v[0:1], v[100:101], v[0:1]
	v_fma_f64 v[100:101], v[4:5], -0.5, v[40:41]
	v_add_f64 v[4:5], v[86:87], v[46:47]
	v_add_f64 v[46:47], v[66:67], -v[86:87]
	s_delay_alu instid0(VALU_DEP_2) | instskip(SKIP_1) | instid1(VALU_DEP_1)
	v_fma_f64 v[102:103], v[4:5], -0.5, v[42:43]
	v_add_f64 v[4:5], v[84:85], v[44:45]
	v_fma_f64 v[154:155], v[4:5], -0.5, v[40:41]
	v_add_f64 v[4:5], v[50:51], v[66:67]
	s_delay_alu instid0(VALU_DEP_1) | instskip(SKIP_4) | instid1(VALU_DEP_4)
	v_fma_f64 v[156:157], v[4:5], -0.5, v[42:43]
	v_add_f64 v[4:5], v[44:45], v[40:41]
	v_mul_f64 v[39:40], v[8:9], s[16:17]
	v_mul_f64 v[8:9], v[8:9], s[8:9]
	v_add_f64 v[44:45], v[64:65], -v[84:85]
	v_add_f64 v[4:5], v[48:49], v[4:5]
	s_delay_alu instid0(VALU_DEP_4) | instskip(NEXT) | instid1(VALU_DEP_4)
	v_fma_f64 v[39:40], v[10:11], s[2:3], v[39:40]
	v_fma_f64 v[42:43], v[10:11], s[16:17], v[8:9]
	;; [unrolled: 1-line block ×6, first 2 shown]
	v_add_f64 v[4:5], v[64:65], v[4:5]
	v_add_f64 v[64:65], v[108:109], v[106:107]
	v_fma_f64 v[8:9], v[110:111], s[2:3], v[8:9]
	v_fma_f64 v[10:11], v[112:113], s[8:9], v[10:11]
	;; [unrolled: 1-line block ×4, first 2 shown]
	v_add_f64 v[4:5], v[84:85], v[4:5]
	v_fma_f64 v[48:49], v[31:32], s[14:15], v[8:9]
	v_fma_f64 v[50:51], v[37:38], s[14:15], v[10:11]
	v_fma_f64 v[21:22], v[31:32], s[14:15], v[21:22]
	v_fma_f64 v[25:26], v[37:38], s[14:15], v[25:26]
	v_fma_f64 v[31:32], v[158:159], s[20:21], v[154:155]
	v_add_f64 v[8:9], v[48:49], v[39:40]
	v_add_f64 v[40:41], v[48:49], -v[39:40]
	v_fma_f64 v[48:49], v[128:129], s[18:19], v[118:119]
	v_add_f64 v[10:11], v[50:51], v[42:43]
	v_add_f64 v[42:43], v[50:51], -v[42:43]
	v_fma_f64 v[50:51], v[126:127], s[20:21], v[90:91]
	v_fma_f64 v[31:32], v[170:171], s[2:3], v[31:32]
	;; [unrolled: 1-line block ×3, first 2 shown]
	s_delay_alu instid0(VALU_DEP_3) | instskip(NEXT) | instid1(VALU_DEP_2)
	v_fma_f64 v[50:51], v[76:77], s[2:3], v[50:51]
	v_fma_f64 v[48:49], v[58:59], s[14:15], v[48:49]
	s_delay_alu instid0(VALU_DEP_2) | instskip(NEXT) | instid1(VALU_DEP_2)
	v_fma_f64 v[50:51], v[56:57], s[14:15], v[50:51]
	v_mul_f64 v[60:61], v[48:49], s[18:19]
	s_delay_alu instid0(VALU_DEP_1) | instskip(SKIP_1) | instid1(VALU_DEP_1)
	v_fma_f64 v[60:61], v[50:51], s[14:15], v[60:61]
	v_mul_f64 v[50:51], v[50:51], s[20:21]
	v_fma_f64 v[62:63], v[48:49], s[14:15], v[50:51]
	v_fma_f64 v[48:49], v[110:111], s[20:21], v[23:24]
	;; [unrolled: 1-line block ×5, first 2 shown]
	s_delay_alu instid0(VALU_DEP_4) | instskip(NEXT) | instid1(VALU_DEP_4)
	v_fma_f64 v[48:49], v[29:30], s[2:3], v[48:49]
	v_fma_f64 v[23:24], v[29:30], s[8:9], v[23:24]
	s_delay_alu instid0(VALU_DEP_4) | instskip(NEXT) | instid1(VALU_DEP_4)
	v_fma_f64 v[50:51], v[35:36], s[8:9], v[50:51]
	v_fma_f64 v[27:28], v[35:36], s[2:3], v[27:28]
	;; [unrolled: 1-line block ×8, first 2 shown]
	v_add_f64 v[48:49], v[66:67], v[60:61]
	v_add_f64 v[60:61], v[66:67], -v[60:61]
	v_fma_f64 v[66:67], v[126:127], s[18:19], v[90:91]
	v_add_f64 v[50:51], v[68:69], v[62:63]
	v_add_f64 v[62:63], v[68:69], -v[62:63]
	s_delay_alu instid0(VALU_DEP_3) | instskip(NEXT) | instid1(VALU_DEP_1)
	v_fma_f64 v[66:67], v[76:77], s[8:9], v[66:67]
	v_fma_f64 v[56:57], v[56:57], s[14:15], v[66:67]
	;; [unrolled: 1-line block ×3, first 2 shown]
	s_delay_alu instid0(VALU_DEP_2) | instskip(NEXT) | instid1(VALU_DEP_2)
	v_mul_f64 v[33:34], v[56:57], s[14:15]
	v_fma_f64 v[66:67], v[72:73], s[2:3], v[66:67]
	s_delay_alu instid0(VALU_DEP_1) | instskip(NEXT) | instid1(VALU_DEP_1)
	v_fma_f64 v[58:59], v[58:59], s[14:15], v[66:67]
	v_fma_f64 v[33:34], v[58:59], s[18:19], -v[33:34]
	v_mul_f64 v[58:59], v[58:59], s[14:15]
	s_delay_alu instid0(VALU_DEP_2) | instskip(NEXT) | instid1(VALU_DEP_2)
	v_add_f64 v[64:65], v[23:24], v[33:34]
	v_fma_f64 v[56:57], v[56:57], s[20:21], -v[58:59]
	v_add_f64 v[68:69], v[23:24], -v[33:34]
	v_fma_f64 v[23:24], v[76:77], s[20:21], v[88:89]
	s_delay_alu instid0(VALU_DEP_3) | instskip(SKIP_2) | instid1(VALU_DEP_4)
	v_add_f64 v[66:67], v[27:28], v[56:57]
	v_add_f64 v[70:71], v[27:28], -v[56:57]
	v_fma_f64 v[27:28], v[72:73], s[18:19], v[120:121]
	v_fma_f64 v[23:24], v[126:127], s[8:9], v[23:24]
	s_delay_alu instid0(VALU_DEP_2) | instskip(NEXT) | instid1(VALU_DEP_2)
	v_fma_f64 v[27:28], v[128:129], s[2:3], v[27:28]
	v_fma_f64 v[23:24], v[52:53], s[14:15], v[23:24]
	s_delay_alu instid0(VALU_DEP_2) | instskip(NEXT) | instid1(VALU_DEP_2)
	v_fma_f64 v[27:28], v[54:55], s[14:15], v[27:28]
	v_mul_f64 v[29:30], v[23:24], s[16:17]
	s_delay_alu instid0(VALU_DEP_1) | instskip(SKIP_1) | instid1(VALU_DEP_2)
	v_fma_f64 v[29:30], v[27:28], s[2:3], -v[29:30]
	v_mul_f64 v[27:28], v[27:28], s[16:17]
	v_add_f64 v[80:81], v[21:22], v[29:30]
	s_delay_alu instid0(VALU_DEP_2)
	v_fma_f64 v[23:24], v[23:24], s[8:9], -v[27:28]
	v_add_f64 v[84:85], v[21:22], -v[29:30]
	v_fma_f64 v[29:30], v[160:161], s[18:19], v[102:103]
	v_add_f64 v[21:22], v[44:45], v[164:165]
	v_add_f64 v[27:28], v[98:99], v[148:149]
	;; [unrolled: 1-line block ×3, first 2 shown]
	v_add_f64 v[86:87], v[25:26], -v[23:24]
	v_add_f64 v[23:24], v[46:47], v[168:169]
	v_fma_f64 v[29:30], v[172:173], s[8:9], v[29:30]
	v_fma_f64 v[31:32], v[21:22], s[14:15], v[31:32]
	;; [unrolled: 1-line block ×3, first 2 shown]
	v_add_f64 v[25:26], v[96:97], v[144:145]
	ds_store_b128 v20, v[8:11] offset:16
	ds_store_b128 v20, v[48:51] offset:32
	;; [unrolled: 1-line block ×8, first 2 shown]
	v_fma_f64 v[8:9], v[172:173], s[20:21], v[156:157]
	v_fma_f64 v[10:11], v[170:171], s[18:19], v[100:101]
	v_add_f64 v[48:49], v[0:1], -v[4:5]
	v_add_f64 v[50:51], v[2:3], -v[6:7]
	v_fma_f64 v[29:30], v[23:24], s[14:15], v[29:30]
	v_fma_f64 v[8:9], v[160:161], s[8:9], v[8:9]
	;; [unrolled: 1-line block ×3, first 2 shown]
	s_delay_alu instid0(VALU_DEP_3) | instskip(NEXT) | instid1(VALU_DEP_1)
	v_mul_f64 v[33:34], v[29:30], s[18:19]
	v_fma_f64 v[33:34], v[31:32], s[14:15], v[33:34]
	v_mul_f64 v[31:32], v[31:32], s[20:21]
	s_delay_alu instid0(VALU_DEP_1) | instskip(SKIP_1) | instid1(VALU_DEP_2)
	v_fma_f64 v[29:30], v[29:30], s[14:15], v[31:32]
	v_fma_f64 v[31:32], v[94:95], s[20:21], v[132:133]
	v_add_f64 v[98:99], v[35:36], v[29:30]
	v_add_f64 v[46:47], v[35:36], -v[29:30]
	v_fma_f64 v[29:30], v[158:159], s[18:19], v[154:155]
	s_delay_alu instid0(VALU_DEP_4) | instskip(NEXT) | instid1(VALU_DEP_2)
	v_fma_f64 v[31:32], v[138:139], s[2:3], v[31:32]
	v_fma_f64 v[29:30], v[170:171], s[8:9], v[29:30]
	s_delay_alu instid0(VALU_DEP_2) | instskip(NEXT) | instid1(VALU_DEP_2)
	v_fma_f64 v[31:32], v[25:26], s[14:15], v[31:32]
	v_fma_f64 v[21:22], v[21:22], s[14:15], v[29:30]
	v_fma_f64 v[29:30], v[160:161], s[20:21], v[102:103]
	s_delay_alu instid0(VALU_DEP_3) | instskip(SKIP_2) | instid1(VALU_DEP_4)
	v_add_f64 v[96:97], v[31:32], v[33:34]
	v_add_f64 v[44:45], v[31:32], -v[33:34]
	v_fma_f64 v[31:32], v[140:141], s[18:19], v[134:135]
	v_fma_f64 v[29:30], v[172:173], s[2:3], v[29:30]
	s_delay_alu instid0(VALU_DEP_2) | instskip(NEXT) | instid1(VALU_DEP_2)
	v_fma_f64 v[31:32], v[92:93], s[2:3], v[31:32]
	v_fma_f64 v[23:24], v[23:24], s[14:15], v[29:30]
	;; [unrolled: 1-line block ×3, first 2 shown]
	s_delay_alu instid0(VALU_DEP_1) | instskip(NEXT) | instid1(VALU_DEP_1)
	v_fma_f64 v[29:30], v[138:139], s[8:9], v[29:30]
	v_fma_f64 v[25:26], v[25:26], s[14:15], v[29:30]
	;; [unrolled: 1-line block ×3, first 2 shown]
	s_delay_alu instid0(VALU_DEP_1) | instskip(NEXT) | instid1(VALU_DEP_1)
	v_fma_f64 v[29:30], v[140:141], s[2:3], v[29:30]
	v_fma_f64 v[27:28], v[27:28], s[14:15], v[29:30]
	v_mul_f64 v[29:30], v[21:22], s[14:15]
	s_delay_alu instid0(VALU_DEP_1) | instskip(SKIP_1) | instid1(VALU_DEP_2)
	v_fma_f64 v[29:30], v[23:24], s[18:19], -v[29:30]
	v_mul_f64 v[23:24], v[23:24], s[14:15]
	v_add_f64 v[52:53], v[25:26], v[29:30]
	s_delay_alu instid0(VALU_DEP_2) | instskip(SKIP_3) | instid1(VALU_DEP_4)
	v_fma_f64 v[21:22], v[21:22], s[20:21], -v[23:24]
	v_add_f64 v[72:73], v[25:26], -v[29:30]
	v_fma_f64 v[25:26], v[170:171], s[20:21], v[100:101]
	v_add_f64 v[23:24], v[152:153], v[146:147]
	v_add_f64 v[54:55], v[27:28], v[21:22]
	v_add_f64 v[74:75], v[27:28], -v[21:22]
	s_delay_alu instid0(VALU_DEP_4) | instskip(SKIP_3) | instid1(VALU_DEP_4)
	v_fma_f64 v[25:26], v[158:159], s[8:9], v[25:26]
	v_fma_f64 v[27:28], v[172:173], s[18:19], v[156:157]
	v_add_f64 v[21:22], v[150:151], v[142:143]
	v_fma_f64 v[31:32], v[23:24], s[14:15], v[31:32]
	v_fma_f64 v[25:26], v[12:13], s[14:15], v[25:26]
	s_delay_alu instid0(VALU_DEP_4) | instskip(NEXT) | instid1(VALU_DEP_2)
	v_fma_f64 v[27:28], v[160:161], s[2:3], v[27:28]
	v_mul_f64 v[29:30], v[25:26], s[16:17]
	s_delay_alu instid0(VALU_DEP_2) | instskip(SKIP_1) | instid1(VALU_DEP_2)
	v_fma_f64 v[27:28], v[14:15], s[14:15], v[27:28]
	v_fma_f64 v[14:15], v[14:15], s[14:15], v[8:9]
	v_fma_f64 v[29:30], v[27:28], s[2:3], -v[29:30]
	v_mul_f64 v[27:28], v[27:28], s[16:17]
	s_delay_alu instid0(VALU_DEP_1) | instskip(SKIP_1) | instid1(VALU_DEP_2)
	v_fma_f64 v[25:26], v[25:26], s[8:9], -v[27:28]
	v_fma_f64 v[27:28], v[138:139], s[20:21], v[130:131]
	v_add_f64 v[58:59], v[31:32], v[25:26]
	s_delay_alu instid0(VALU_DEP_2) | instskip(SKIP_2) | instid1(VALU_DEP_3)
	v_fma_f64 v[27:28], v[94:95], s[8:9], v[27:28]
	v_add_f64 v[78:79], v[31:32], -v[25:26]
	v_fma_f64 v[25:26], v[138:139], s[18:19], v[130:131]
	v_fma_f64 v[27:28], v[21:22], s[14:15], v[27:28]
	s_delay_alu instid0(VALU_DEP_2) | instskip(NEXT) | instid1(VALU_DEP_2)
	v_fma_f64 v[25:26], v[94:95], s[2:3], v[25:26]
	v_add_f64 v[56:57], v[27:28], v[29:30]
	v_add_f64 v[76:77], v[27:28], -v[29:30]
	v_fma_f64 v[27:28], v[140:141], s[20:21], v[134:135]
	v_fma_f64 v[29:30], v[12:13], s[14:15], v[10:11]
	;; [unrolled: 1-line block ×3, first 2 shown]
	v_mul_f64 v[10:11], v[14:15], s[2:3]
	s_load_b64 s[2:3], s[0:1], 0x8
	s_delay_alu instid0(VALU_DEP_4) | instskip(NEXT) | instid1(VALU_DEP_4)
	v_fma_f64 v[27:28], v[92:93], s[8:9], v[27:28]
	v_mul_f64 v[21:22], v[29:30], s[8:9]
	s_delay_alu instid0(VALU_DEP_3) | instskip(NEXT) | instid1(VALU_DEP_3)
	v_fma_f64 v[10:11], v[29:30], s[16:17], v[10:11]
	v_fma_f64 v[12:13], v[23:24], s[14:15], v[27:28]
	s_delay_alu instid0(VALU_DEP_3) | instskip(SKIP_1) | instid1(VALU_DEP_4)
	v_fma_f64 v[14:15], v[14:15], s[16:17], v[21:22]
	v_add_co_u32 v22, s0, 0x78, v178
	v_add_f64 v[104:105], v[8:9], -v[10:11]
	v_add_co_ci_u32_e64 v19, null, 0, 0, s0
	s_delay_alu instid0(VALU_DEP_3)
	v_mul_u32_u24_e32 v19, 10, v22
	scratch_store_b32 off, v19, off offset:284 ; 4-byte Folded Spill
	v_add_f64 v[106:107], v[12:13], -v[14:15]
	s_and_saveexec_b32 s0, vcc_lo
	s_cbranch_execz .LBB0_7
; %bb.6:
	v_add_f64 v[2:3], v[6:7], v[2:3]
	v_add_f64 v[0:1], v[4:5], v[0:1]
	;; [unrolled: 1-line block ×4, first 2 shown]
	v_mul_u32_u24_e32 v4, 10, v22
	s_delay_alu instid0(VALU_DEP_1)
	v_add_lshl_u32 v4, v179, v4, 4
	ds_store_b128 v4, v[96:99] offset:32
	ds_store_b128 v4, v[52:55] offset:48
	;; [unrolled: 1-line block ×6, first 2 shown]
	ds_store_b128 v4, v[0:3]
	ds_store_b128 v4, v[10:13] offset:16
	ds_store_b128 v4, v[72:75] offset:128
	ds_store_b128 v4, v[76:79] offset:144
.LBB0_7:
	s_or_b32 exec_lo, exec_lo, s0
	s_waitcnt lgkmcnt(0)
	s_waitcnt_vscnt null, 0x0
	s_barrier
	buffer_gl0_inv
	scratch_load_b32 v0, off, off           ; 4-byte Folded Reload
	v_cmp_gt_u16_e64 s0, 0x50, v178
	s_waitcnt vmcnt(0)
	ds_load_b128 v[120:123], v0
	ds_load_b128 v[100:103], v18 offset:1920
	ds_load_b128 v[4:7], v18 offset:5120
	;; [unrolled: 1-line block ×11, first 2 shown]
	s_and_saveexec_b32 s1, s0
	s_cbranch_execz .LBB0_9
; %bb.8:
	ds_load_b128 v[96:99], v18 offset:3840
	ds_load_b128 v[52:55], v18 offset:8960
	;; [unrolled: 1-line block ×6, first 2 shown]
.LBB0_9:
	s_or_b32 exec_lo, exec_lo, s1
	v_and_b32_e32 v19, 0xff, v178
	s_mov_b32 s14, 0xe8584caa
	s_mov_b32 s15, 0x3febb67a
	;; [unrolled: 1-line block ×4, first 2 shown]
	v_mul_lo_u16 v19, 0xcd, v19
	s_delay_alu instid0(VALU_DEP_1) | instskip(NEXT) | instid1(VALU_DEP_1)
	v_lshrrev_b16 v23, 11, v19
	v_mul_lo_u16 v19, v23, 10
	s_delay_alu instid0(VALU_DEP_1) | instskip(NEXT) | instid1(VALU_DEP_1)
	v_sub_nc_u16 v19, v178, v19
	v_and_b32_e32 v21, 0xff, v19
	v_and_b32_e32 v19, 0xff, v22
	s_delay_alu instid0(VALU_DEP_2) | instskip(NEXT) | instid1(VALU_DEP_2)
	v_mad_u64_u32 v[24:25], null, 0x50, v21, s[2:3]
	v_mul_lo_u16 v19, 0xcd, v19
	s_delay_alu instid0(VALU_DEP_1)
	v_lshrrev_b16 v126, 11, v19
	s_clause 0x2
	global_load_b128 v[92:95], v[24:25], off offset:64
	global_load_b128 v[68:71], v[24:25], off offset:32
	;; [unrolled: 1-line block ×3, first 2 shown]
	v_mul_lo_u16 v19, v126, 10
	s_delay_alu instid0(VALU_DEP_1) | instskip(NEXT) | instid1(VALU_DEP_1)
	v_sub_nc_u16 v19, v22, v19
	v_and_b32_e32 v127, 0xff, v19
	v_and_b32_e32 v19, 0xffff, v23
	s_delay_alu instid0(VALU_DEP_2) | instskip(NEXT) | instid1(VALU_DEP_2)
	v_mad_u64_u32 v[34:35], null, 0x50, v127, s[2:3]
	v_mul_u32_u24_e32 v19, 60, v19
	s_delay_alu instid0(VALU_DEP_1)
	v_add_nc_u32_e32 v19, v19, v21
	s_clause 0x1
	global_load_b128 v[84:87], v[34:35], off offset:32
	global_load_b128 v[88:91], v[34:35], off offset:64
	v_add_lshl_u32 v19, v179, v19, 4
	s_waitcnt vmcnt(1) lgkmcnt(4)
	v_mul_f64 v[36:37], v[14:15], v[86:87]
	s_delay_alu instid0(VALU_DEP_1) | instskip(SKIP_1) | instid1(VALU_DEP_1)
	v_fma_f64 v[36:37], v[12:13], v[84:85], -v[36:37]
	v_mul_f64 v[12:13], v[12:13], v[86:87]
	v_fma_f64 v[38:39], v[14:15], v[84:85], v[12:13]
	s_waitcnt vmcnt(0) lgkmcnt(0)
	v_mul_f64 v[12:13], v[8:9], v[90:91]
	s_delay_alu instid0(VALU_DEP_1) | instskip(SKIP_1) | instid1(VALU_DEP_1)
	v_fma_f64 v[152:153], v[10:11], v[88:89], v[12:13]
	v_mul_f64 v[10:11], v[10:11], v[90:91]
	v_fma_f64 v[154:155], v[8:9], v[88:89], -v[10:11]
	global_load_b128 v[10:13], v[24:25], off
	s_waitcnt vmcnt(0)
	v_mul_f64 v[8:9], v[6:7], v[12:13]
	s_delay_alu instid0(VALU_DEP_1) | instskip(SKIP_1) | instid1(VALU_DEP_1)
	v_fma_f64 v[136:137], v[4:5], v[10:11], -v[8:9]
	v_mul_f64 v[4:5], v[4:5], v[12:13]
	v_fma_f64 v[138:139], v[6:7], v[10:11], v[4:5]
	global_load_b128 v[6:9], v[34:35], off
	v_mul_f64 v[32:33], v[62:63], v[94:95]
	v_mul_f64 v[30:31], v[60:61], v[94:95]
	scratch_store_b128 off, v[10:13], off offset:232 ; 16-byte Folded Spill
	v_fma_f64 v[32:33], v[60:61], v[92:93], -v[32:33]
	v_fma_f64 v[30:31], v[62:63], v[92:93], v[30:31]
	s_waitcnt vmcnt(0)
	scratch_store_b128 off, v[6:9], off offset:248 ; 16-byte Folded Spill
	v_mul_f64 v[4:5], v[2:3], v[8:9]
	s_delay_alu instid0(VALU_DEP_1) | instskip(SKIP_1) | instid1(VALU_DEP_1)
	v_fma_f64 v[156:157], v[0:1], v[6:7], -v[4:5]
	v_mul_f64 v[0:1], v[0:1], v[8:9]
	v_fma_f64 v[158:159], v[2:3], v[6:7], v[0:1]
	v_mul_f64 v[0:1], v[118:119], v[82:83]
	s_delay_alu instid0(VALU_DEP_1) | instskip(SKIP_1) | instid1(VALU_DEP_1)
	v_fma_f64 v[140:141], v[116:117], v[80:81], -v[0:1]
	v_mul_f64 v[0:1], v[116:117], v[82:83]
	v_fma_f64 v[142:143], v[118:119], v[80:81], v[0:1]
	global_load_b128 v[116:119], v[24:25], off offset:48
	v_mul_f64 v[26:27], v[66:67], v[70:71]
	v_mul_f64 v[28:29], v[64:65], v[70:71]
	s_delay_alu instid0(VALU_DEP_2) | instskip(NEXT) | instid1(VALU_DEP_2)
	v_fma_f64 v[26:27], v[64:65], v[68:69], -v[26:27]
	v_fma_f64 v[28:29], v[66:67], v[68:69], v[28:29]
	s_waitcnt vmcnt(0)
	v_mul_f64 v[0:1], v[110:111], v[118:119]
	s_delay_alu instid0(VALU_DEP_1) | instskip(SKIP_1) | instid1(VALU_DEP_1)
	v_fma_f64 v[24:25], v[108:109], v[116:117], -v[0:1]
	v_mul_f64 v[0:1], v[108:109], v[118:119]
	v_fma_f64 v[144:145], v[110:111], v[116:117], v[0:1]
	global_load_b128 v[108:111], v[34:35], off offset:16
	s_waitcnt vmcnt(0)
	v_mul_f64 v[0:1], v[114:115], v[110:111]
	s_delay_alu instid0(VALU_DEP_1) | instskip(SKIP_1) | instid1(VALU_DEP_1)
	v_fma_f64 v[160:161], v[112:113], v[108:109], -v[0:1]
	v_mul_f64 v[0:1], v[112:113], v[110:111]
	v_fma_f64 v[162:163], v[114:115], v[108:109], v[0:1]
	global_load_b128 v[112:115], v[34:35], off offset:48
	s_waitcnt vmcnt(0)
	v_mul_f64 v[0:1], v[42:43], v[114:115]
	s_delay_alu instid0(VALU_DEP_1) | instskip(SKIP_1) | instid1(VALU_DEP_1)
	v_fma_f64 v[34:35], v[40:41], v[112:113], -v[0:1]
	v_mul_f64 v[0:1], v[40:41], v[114:115]
	v_fma_f64 v[40:41], v[42:43], v[112:113], v[0:1]
	v_add_nc_u16 v0, v178, 0xf0
	s_delay_alu instid0(VALU_DEP_1) | instskip(NEXT) | instid1(VALU_DEP_1)
	v_and_b32_e32 v1, 0xffff, v0
	v_mul_u32_u24_e32 v1, 0xcccd, v1
	s_delay_alu instid0(VALU_DEP_1) | instskip(NEXT) | instid1(VALU_DEP_1)
	v_lshrrev_b32_e32 v22, 19, v1
	v_mul_lo_u16 v1, v22, 10
	s_delay_alu instid0(VALU_DEP_1) | instskip(NEXT) | instid1(VALU_DEP_1)
	v_sub_nc_u16 v60, v0, v1
	v_mul_lo_u16 v0, 0x50, v60
	v_mad_u16 v21, v22, 60, v60
	s_delay_alu instid0(VALU_DEP_2) | instskip(NEXT) | instid1(VALU_DEP_1)
	v_and_b32_e32 v0, 0xffff, v0
	v_add_co_u32 v14, s1, s2, v0
	s_delay_alu instid0(VALU_DEP_1)
	v_add_co_ci_u32_e64 v15, null, s3, 0, s1
	s_clause 0x1
	global_load_b128 v[4:7], v[14:15], off offset:32
	global_load_b128 v[8:11], v[14:15], off offset:64
	s_waitcnt vmcnt(1)
	v_mul_f64 v[2:3], v[48:49], v[6:7]
	v_mul_f64 v[0:1], v[50:51], v[6:7]
	scratch_store_b128 off, v[4:7], off offset:288 ; 16-byte Folded Spill
	s_waitcnt vmcnt(0)
	scratch_store_b128 off, v[8:11], off offset:320 ; 16-byte Folded Spill
	v_fma_f64 v[6:7], v[50:51], v[4:5], v[2:3]
	v_mul_f64 v[2:3], v[44:45], v[10:11]
	v_fma_f64 v[0:1], v[48:49], v[4:5], -v[0:1]
	s_delay_alu instid0(VALU_DEP_2) | instskip(SKIP_1) | instid1(VALU_DEP_1)
	v_fma_f64 v[4:5], v[46:47], v[8:9], v[2:3]
	v_mul_f64 v[2:3], v[46:47], v[10:11]
	v_fma_f64 v[2:3], v[44:45], v[8:9], -v[2:3]
	global_load_b128 v[42:45], v[14:15], off
	s_waitcnt vmcnt(0)
	v_mul_f64 v[8:9], v[54:55], v[44:45]
	v_mul_f64 v[10:11], v[52:53], v[44:45]
	scratch_store_b128 off, v[42:45], off offset:304 ; 16-byte Folded Spill
	global_load_b128 v[44:47], v[14:15], off offset:16
	v_fma_f64 v[8:9], v[52:53], v[42:43], -v[8:9]
	v_fma_f64 v[10:11], v[54:55], v[42:43], v[10:11]
	s_waitcnt vmcnt(0)
	v_mul_f64 v[12:13], v[58:59], v[46:47]
	v_mul_f64 v[42:43], v[56:57], v[46:47]
	scratch_store_b128 off, v[44:47], off offset:336 ; 16-byte Folded Spill
	v_fma_f64 v[12:13], v[56:57], v[44:45], -v[12:13]
	v_fma_f64 v[124:125], v[58:59], v[44:45], v[42:43]
	global_load_b128 v[44:47], v[14:15], off offset:48
	s_waitcnt vmcnt(0)
	v_mul_f64 v[14:15], v[106:107], v[46:47]
	v_mul_f64 v[42:43], v[104:105], v[46:47]
	scratch_store_b128 off, v[44:47], off offset:352 ; 16-byte Folded Spill
	s_waitcnt_vscnt null, 0x0
	s_barrier
	buffer_gl0_inv
	v_fma_f64 v[14:15], v[104:105], v[44:45], -v[14:15]
	v_fma_f64 v[104:105], v[106:107], v[44:45], v[42:43]
	v_add_f64 v[42:43], v[140:141], v[24:25]
	v_add_f64 v[106:107], v[142:143], v[144:145]
	s_delay_alu instid0(VALU_DEP_2) | instskip(SKIP_1) | instid1(VALU_DEP_3)
	v_fma_f64 v[42:43], v[42:43], -0.5, v[120:121]
	v_add_f64 v[120:121], v[120:121], v[140:141]
	v_fma_f64 v[106:107], v[106:107], -0.5, v[122:123]
	v_add_f64 v[122:123], v[122:123], v[142:143]
	s_delay_alu instid0(VALU_DEP_3) | instskip(SKIP_1) | instid1(VALU_DEP_3)
	v_add_f64 v[128:129], v[120:121], v[24:25]
	v_add_f64 v[120:121], v[136:137], v[26:27]
	;; [unrolled: 1-line block ×3, first 2 shown]
	v_add_f64 v[24:25], v[140:141], -v[24:25]
	s_delay_alu instid0(VALU_DEP_3) | instskip(SKIP_1) | instid1(VALU_DEP_1)
	v_add_f64 v[132:133], v[120:121], v[32:33]
	v_add_f64 v[120:121], v[138:139], v[28:29]
	;; [unrolled: 1-line block ×3, first 2 shown]
	s_delay_alu instid0(VALU_DEP_3) | instskip(SKIP_2) | instid1(VALU_DEP_4)
	v_add_f64 v[120:121], v[128:129], v[132:133]
	v_add_f64 v[128:129], v[128:129], -v[132:133]
	v_add_f64 v[132:133], v[160:161], v[34:35]
	v_add_f64 v[122:123], v[130:131], v[134:135]
	v_add_f64 v[130:131], v[130:131], -v[134:135]
	s_delay_alu instid0(VALU_DEP_3) | instskip(SKIP_2) | instid1(VALU_DEP_2)
	v_fma_f64 v[164:165], v[132:133], -0.5, v[100:101]
	v_add_f64 v[132:133], v[162:163], v[40:41]
	v_add_f64 v[100:101], v[100:101], v[160:161]
	v_fma_f64 v[166:167], v[132:133], -0.5, v[102:103]
	s_delay_alu instid0(VALU_DEP_2) | instskip(SKIP_3) | instid1(VALU_DEP_3)
	v_add_f64 v[132:133], v[100:101], v[34:35]
	v_add_f64 v[100:101], v[156:157], v[36:37]
	;; [unrolled: 1-line block ×3, first 2 shown]
	v_add_f64 v[34:35], v[160:161], -v[34:35]
	v_add_f64 v[146:147], v[100:101], v[154:155]
	v_add_f64 v[100:101], v[158:159], v[38:39]
	s_delay_alu instid0(VALU_DEP_4) | instskip(NEXT) | instid1(VALU_DEP_2)
	v_add_f64 v[134:135], v[102:103], v[40:41]
	v_add_f64 v[148:149], v[100:101], v[152:153]
	s_delay_alu instid0(VALU_DEP_4)
	v_add_f64 v[100:101], v[132:133], v[146:147]
	v_add_f64 v[132:133], v[132:133], -v[146:147]
	v_add_f64 v[146:147], v[26:27], v[32:33]
	v_add_f64 v[26:27], v[26:27], -v[32:33]
	;; [unrolled: 2-line block ×3, first 2 shown]
	v_add_f64 v[30:31], v[142:143], -v[144:145]
	v_add_f64 v[102:103], v[134:135], v[148:149]
	v_add_f64 v[134:135], v[134:135], -v[148:149]
	v_fma_f64 v[148:149], v[24:25], s[8:9], v[106:107]
	v_fma_f64 v[144:145], v[146:147], -0.5, v[136:137]
	v_fma_f64 v[24:25], v[24:25], s[14:15], v[106:107]
	v_fma_f64 v[32:33], v[32:33], -0.5, v[138:139]
	v_fma_f64 v[146:147], v[30:31], s[14:15], v[42:43]
	v_fma_f64 v[30:31], v[30:31], s[8:9], v[42:43]
	;; [unrolled: 1-line block ×7, first 2 shown]
	s_delay_alu instid0(VALU_DEP_3) | instskip(NEXT) | instid1(VALU_DEP_3)
	v_mul_f64 v[32:33], v[28:29], -0.5
	v_mul_f64 v[140:141], v[136:137], s[14:15]
	s_delay_alu instid0(VALU_DEP_2) | instskip(SKIP_1) | instid1(VALU_DEP_3)
	v_fma_f64 v[32:33], v[26:27], s[14:15], v[32:33]
	v_mul_f64 v[26:27], v[26:27], -0.5
	v_fma_f64 v[140:141], v[138:139], 0.5, v[140:141]
	v_mul_f64 v[138:139], v[138:139], s[8:9]
	s_delay_alu instid0(VALU_DEP_4) | instskip(NEXT) | instid1(VALU_DEP_4)
	v_add_f64 v[144:145], v[30:31], v[32:33]
	v_fma_f64 v[26:27], v[28:29], s[8:9], v[26:27]
	v_add_f64 v[28:29], v[38:39], v[152:153]
	s_delay_alu instid0(VALU_DEP_4)
	v_fma_f64 v[142:143], v[136:137], 0.5, v[138:139]
	v_add_f64 v[136:137], v[146:147], v[140:141]
	v_add_f64 v[140:141], v[146:147], -v[140:141]
	v_add_f64 v[146:147], v[24:25], v[26:27]
	v_add_f64 v[150:151], v[24:25], -v[26:27]
	;; [unrolled: 2-line block ×3, first 2 shown]
	v_fma_f64 v[28:29], v[28:29], -0.5, v[158:159]
	v_add_f64 v[138:139], v[148:149], v[142:143]
	v_add_f64 v[142:143], v[148:149], -v[142:143]
	v_add_f64 v[148:149], v[30:31], -v[32:33]
	;; [unrolled: 1-line block ×4, first 2 shown]
	ds_store_b128 v19, v[120:123]
	ds_store_b128 v19, v[128:131] offset:480
	ds_store_b128 v19, v[136:139] offset:160
	;; [unrolled: 1-line block ×4, first 2 shown]
	v_fma_f64 v[24:25], v[24:25], -0.5, v[156:157]
	v_fma_f64 v[36:37], v[26:27], s[8:9], v[28:29]
	v_fma_f64 v[26:27], v[26:27], s[14:15], v[28:29]
	scratch_store_b32 off, v19, off offset:280 ; 4-byte Folded Spill
	ds_store_b128 v19, v[148:151] offset:800
	v_fma_f64 v[28:29], v[32:33], s[8:9], v[164:165]
	v_and_b32_e32 v19, 0xffff, v126
	s_delay_alu instid0(VALU_DEP_1) | instskip(NEXT) | instid1(VALU_DEP_1)
	v_mul_u32_u24_e32 v19, 60, v19
	v_add_nc_u32_e32 v19, v19, v127
	s_delay_alu instid0(VALU_DEP_1) | instskip(SKIP_4) | instid1(VALU_DEP_3)
	v_add_lshl_u32 v19, v179, v19, 4
	v_fma_f64 v[38:39], v[30:31], s[14:15], v[24:25]
	v_mul_f64 v[40:41], v[36:37], s[14:15]
	v_fma_f64 v[24:25], v[30:31], s[8:9], v[24:25]
	v_fma_f64 v[30:31], v[34:35], s[14:15], v[166:167]
	v_fma_f64 v[40:41], v[38:39], 0.5, v[40:41]
	v_mul_f64 v[38:39], v[38:39], s[8:9]
	s_delay_alu instid0(VALU_DEP_1) | instskip(SKIP_2) | instid1(VALU_DEP_3)
	v_fma_f64 v[36:37], v[36:37], 0.5, v[38:39]
	v_fma_f64 v[38:39], v[32:33], s[14:15], v[164:165]
	v_mul_f64 v[32:33], v[24:25], -0.5
	v_add_f64 v[154:155], v[42:43], v[36:37]
	s_delay_alu instid0(VALU_DEP_3) | instskip(NEXT) | instid1(VALU_DEP_3)
	v_add_f64 v[152:153], v[38:39], v[40:41]
	v_fma_f64 v[32:33], v[26:27], s[14:15], v[32:33]
	v_mul_f64 v[26:27], v[26:27], -0.5
	v_add_f64 v[156:157], v[38:39], -v[40:41]
	v_add_f64 v[158:159], v[42:43], -v[36:37]
	s_delay_alu instid0(VALU_DEP_4) | instskip(NEXT) | instid1(VALU_DEP_4)
	v_add_f64 v[160:161], v[28:29], v[32:33]
	v_fma_f64 v[24:25], v[24:25], s[8:9], v[26:27]
	v_add_f64 v[164:165], v[28:29], -v[32:33]
	v_add_f64 v[33:34], v[124:125], -v[104:105]
	s_delay_alu instid0(VALU_DEP_3)
	v_add_f64 v[162:163], v[30:31], v[24:25]
	v_add_f64 v[166:167], v[30:31], -v[24:25]
	v_add_f64 v[23:24], v[0:1], v[2:3]
	v_add_f64 v[25:26], v[6:7], -v[4:5]
	v_add_f64 v[29:30], v[0:1], -v[2:3]
	ds_store_b128 v19, v[100:103]
	ds_store_b128 v19, v[152:155] offset:160
	ds_store_b128 v19, v[160:163] offset:320
	;; [unrolled: 1-line block ×5, first 2 shown]
	scratch_store_b32 off, v21, off offset:264 ; 4-byte Folded Spill
	v_fma_f64 v[23:24], v[23:24], -0.5, v[8:9]
	s_delay_alu instid0(VALU_DEP_1) | instskip(SKIP_2) | instid1(VALU_DEP_1)
	v_fma_f64 v[27:28], v[25:26], s[8:9], v[23:24]
	v_fma_f64 v[23:24], v[25:26], s[14:15], v[23:24]
	v_add_f64 v[25:26], v[6:7], v[4:5]
	v_fma_f64 v[25:26], v[25:26], -0.5, v[10:11]
	s_delay_alu instid0(VALU_DEP_1) | instskip(SKIP_2) | instid1(VALU_DEP_1)
	v_fma_f64 v[31:32], v[29:30], s[8:9], v[25:26]
	v_fma_f64 v[25:26], v[29:30], s[14:15], v[25:26]
	v_add_f64 v[29:30], v[12:13], v[14:15]
	v_fma_f64 v[29:30], v[29:30], -0.5, v[96:97]
	s_delay_alu instid0(VALU_DEP_1) | instskip(SKIP_3) | instid1(VALU_DEP_2)
	v_fma_f64 v[100:101], v[33:34], s[14:15], v[29:30]
	v_fma_f64 v[106:107], v[33:34], s[8:9], v[29:30]
	v_add_f64 v[29:30], v[124:125], v[104:105]
	v_add_f64 v[33:34], v[12:13], -v[14:15]
	v_fma_f64 v[29:30], v[29:30], -0.5, v[98:99]
	s_delay_alu instid0(VALU_DEP_1) | instskip(SKIP_2) | instid1(VALU_DEP_1)
	v_fma_f64 v[120:121], v[33:34], s[8:9], v[29:30]
	v_fma_f64 v[126:127], v[33:34], s[14:15], v[29:30]
	v_mul_f64 v[29:30], v[31:32], s[14:15]
	v_fma_f64 v[102:103], v[23:24], 0.5, v[29:30]
	v_mul_f64 v[23:24], v[23:24], s[8:9]
	s_delay_alu instid0(VALU_DEP_2) | instskip(NEXT) | instid1(VALU_DEP_2)
	v_add_f64 v[204:205], v[100:101], -v[102:103]
	v_fma_f64 v[128:129], v[31:32], 0.5, v[23:24]
	v_mul_f64 v[23:24], v[27:28], -0.5
	s_delay_alu instid0(VALU_DEP_2) | instskip(NEXT) | instid1(VALU_DEP_2)
	v_add_f64 v[206:207], v[120:121], -v[128:129]
	v_fma_f64 v[122:123], v[25:26], s[14:15], v[23:24]
	v_mul_f64 v[23:24], v[25:26], -0.5
	s_delay_alu instid0(VALU_DEP_2) | instskip(NEXT) | instid1(VALU_DEP_2)
	v_add_f64 v[200:201], v[106:107], -v[122:123]
	v_fma_f64 v[130:131], v[27:28], s[8:9], v[23:24]
	s_delay_alu instid0(VALU_DEP_1)
	v_add_f64 v[202:203], v[126:127], -v[130:131]
	s_and_saveexec_b32 s1, s0
	s_cbranch_execz .LBB0_11
; %bb.10:
	scratch_load_b32 v21, off, off offset:264 ; 4-byte Folded Reload
	v_add_f64 v[23:24], v[98:99], v[124:125]
	v_add_f64 v[6:7], v[10:11], v[6:7]
	;; [unrolled: 1-line block ×4, first 2 shown]
	s_delay_alu instid0(VALU_DEP_4) | instskip(NEXT) | instid1(VALU_DEP_4)
	v_add_f64 v[12:13], v[23:24], v[104:105]
	v_add_f64 v[23:24], v[6:7], v[4:5]
	s_delay_alu instid0(VALU_DEP_4) | instskip(NEXT) | instid1(VALU_DEP_4)
	v_add_f64 v[25:26], v[10:11], v[14:15]
	v_add_f64 v[27:28], v[0:1], v[2:3]
	;; [unrolled: 1-line block ×7, first 2 shown]
	v_add_f64 v[14:15], v[12:13], -v[23:24]
	v_add_f64 v[8:9], v[25:26], v[27:28]
	v_add_f64 v[12:13], v[25:26], -v[27:28]
	s_waitcnt vmcnt(0)
	v_and_b32_e32 v21, 0xffff, v21
	s_delay_alu instid0(VALU_DEP_1)
	v_add_lshl_u32 v21, v179, v21, 4
	ds_store_b128 v21, v[8:11]
	ds_store_b128 v21, v[4:7] offset:160
	ds_store_b128 v21, v[0:3] offset:320
	;; [unrolled: 1-line block ×5, first 2 shown]
.LBB0_11:
	s_or_b32 exec_lo, exec_lo, s1
	v_subrev_nc_u32_e32 v0, 60, v178
	v_cmp_gt_u16_e64 s1, 60, v178
	s_waitcnt lgkmcnt(0)
	s_waitcnt_vscnt null, 0x0
	s_barrier
	buffer_gl0_inv
	v_dual_mov_b32 v22, v178 :: v_dual_mov_b32 v45, v179
	v_cndmask_b32_e64 v23, v0, v178, s1
	s_mov_b32 s8, 0x667f3bcd
	s_mov_b32 s9, 0xbfe6a09e
	;; [unrolled: 1-line block ×4, first 2 shown]
	v_mul_i32_i24_e32 v0, 0xf0, v23
	v_mul_hi_i32_i24_e32 v1, 0xf0, v23
	s_mov_b32 s16, 0xcf328d46
	s_mov_b32 s17, 0xbfed906b
	;; [unrolled: 1-line block ×3, first 2 shown]
	v_add_co_u32 v8, s1, s2, v0
	s_delay_alu instid0(VALU_DEP_1)
	v_add_co_ci_u32_e64 v9, s1, s3, v1, s1
	s_mov_b32 s22, s16
	s_clause 0x4
	global_load_b128 v[104:107], v[8:9], off offset:800
	global_load_b128 v[100:103], v[8:9], off offset:816
	;; [unrolled: 1-line block ×5, first 2 shown]
	ds_load_b128 v[0:3], v18 offset:1920
	ds_load_b128 v[4:7], v18 offset:3840
	s_clause 0x9
	global_load_b128 v[128:131], v[8:9], off offset:880
	global_load_b128 v[132:135], v[8:9], off offset:896
	;; [unrolled: 1-line block ×10, first 2 shown]
	scratch_load_b32 v44, off, off          ; 4-byte Folded Reload
	s_mov_b32 s18, 0xa6aea964
	s_mov_b32 s19, 0xbfd87de2
	;; [unrolled: 1-line block ×4, first 2 shown]
	v_cmp_lt_u16_e64 s1, 59, v22
	scratch_store_b32 off, v45, off offset:8 ; 4-byte Folded Spill
	v_cndmask_b32_e64 v21, 0, 0x3c0, s1
	s_delay_alu instid0(VALU_DEP_1) | instskip(NEXT) | instid1(VALU_DEP_1)
	v_or_b32_e32 v21, v23, v21
	v_add_lshl_u32 v23, v45, v21, 4
	s_waitcnt vmcnt(15) lgkmcnt(1)
	v_mul_f64 v[10:11], v[2:3], v[106:107]
	v_mul_f64 v[12:13], v[0:1], v[106:107]
	s_waitcnt vmcnt(14) lgkmcnt(0)
	v_mul_f64 v[14:15], v[6:7], v[102:103]
	s_delay_alu instid0(VALU_DEP_3) | instskip(SKIP_1) | instid1(VALU_DEP_4)
	v_fma_f64 v[24:25], v[0:1], v[104:105], -v[10:11]
	v_mul_f64 v[0:1], v[4:5], v[102:103]
	v_fma_f64 v[26:27], v[2:3], v[104:105], v[12:13]
	s_delay_alu instid0(VALU_DEP_4) | instskip(NEXT) | instid1(VALU_DEP_3)
	v_fma_f64 v[28:29], v[4:5], v[100:101], -v[14:15]
	v_fma_f64 v[30:31], v[6:7], v[100:101], v[0:1]
	ds_load_b128 v[0:3], v18 offset:5760
	s_waitcnt vmcnt(13) lgkmcnt(0)
	v_mul_f64 v[4:5], v[2:3], v[98:99]
	s_delay_alu instid0(VALU_DEP_1) | instskip(SKIP_1) | instid1(VALU_DEP_1)
	v_fma_f64 v[32:33], v[0:1], v[96:97], -v[4:5]
	v_mul_f64 v[0:1], v[0:1], v[98:99]
	v_fma_f64 v[34:35], v[2:3], v[96:97], v[0:1]
	ds_load_b128 v[0:3], v18 offset:7680
	s_waitcnt vmcnt(12) lgkmcnt(0)
	v_mul_f64 v[4:5], v[2:3], v[122:123]
	s_delay_alu instid0(VALU_DEP_1) | instskip(SKIP_1) | instid1(VALU_DEP_1)
	v_fma_f64 v[36:37], v[0:1], v[120:121], -v[4:5]
	v_mul_f64 v[0:1], v[0:1], v[122:123]
	;; [unrolled: 7-line block ×6, first 2 shown]
	v_fma_f64 v[12:13], v[2:3], v[136:137], v[0:1]
	ds_load_b128 v[0:3], v18 offset:23040
	s_waitcnt vmcnt(6) lgkmcnt(0)
	v_mul_f64 v[4:5], v[2:3], v[142:143]
	s_delay_alu instid0(VALU_DEP_1) | instskip(SKIP_1) | instid1(VALU_DEP_2)
	v_fma_f64 v[14:15], v[0:1], v[140:141], -v[4:5]
	v_mul_f64 v[0:1], v[0:1], v[142:143]
	v_add_f64 v[216:217], v[36:37], -v[14:15]
	s_delay_alu instid0(VALU_DEP_2)
	v_fma_f64 v[172:173], v[2:3], v[140:141], v[0:1]
	ds_load_b128 v[0:3], v18 offset:19200
	s_waitcnt vmcnt(4) lgkmcnt(0)
	v_mul_f64 v[4:5], v[2:3], v[146:147]
	v_fma_f64 v[36:37], v[36:37], 2.0, -v[216:217]
	v_add_f64 v[218:219], v[38:39], -v[172:173]
	s_delay_alu instid0(VALU_DEP_3) | instskip(SKIP_1) | instid1(VALU_DEP_3)
	v_fma_f64 v[174:175], v[0:1], v[144:145], -v[4:5]
	v_mul_f64 v[0:1], v[0:1], v[146:147]
	v_fma_f64 v[38:39], v[38:39], 2.0, -v[218:219]
	s_delay_alu instid0(VALU_DEP_2) | instskip(SKIP_3) | instid1(VALU_DEP_1)
	v_fma_f64 v[180:181], v[2:3], v[144:145], v[0:1]
	ds_load_b128 v[0:3], v18 offset:26880
	s_waitcnt vmcnt(2) lgkmcnt(0)
	v_mul_f64 v[4:5], v[2:3], v[150:151]
	v_fma_f64 v[182:183], v[0:1], v[148:149], -v[4:5]
	v_mul_f64 v[0:1], v[0:1], v[150:151]
	s_delay_alu instid0(VALU_DEP_2) | instskip(NEXT) | instid1(VALU_DEP_2)
	v_add_f64 v[220:221], v[176:177], -v[182:183]
	v_fma_f64 v[188:189], v[2:3], v[148:149], v[0:1]
	ds_load_b128 v[0:3], v18 offset:17280
	s_waitcnt lgkmcnt(0)
	v_mul_f64 v[4:5], v[2:3], v[154:155]
	v_add_f64 v[222:223], v[178:179], -v[188:189]
	s_delay_alu instid0(VALU_DEP_2) | instskip(SKIP_1) | instid1(VALU_DEP_1)
	v_fma_f64 v[190:191], v[0:1], v[152:153], -v[4:5]
	v_mul_f64 v[0:1], v[0:1], v[154:155]
	v_fma_f64 v[192:193], v[2:3], v[152:153], v[0:1]
	ds_load_b128 v[0:3], v18 offset:24960
	s_waitcnt lgkmcnt(0)
	v_mul_f64 v[4:5], v[2:3], v[158:159]
	v_add_f64 v[8:9], v[26:27], -v[192:193]
	s_delay_alu instid0(VALU_DEP_2) | instskip(SKIP_1) | instid1(VALU_DEP_2)
	v_fma_f64 v[194:195], v[0:1], v[156:157], -v[4:5]
	v_mul_f64 v[0:1], v[0:1], v[158:159]
	v_add_f64 v[224:225], v[40:41], -v[194:195]
	s_delay_alu instid0(VALU_DEP_2) | instskip(SKIP_4) | instid1(VALU_DEP_2)
	v_fma_f64 v[196:197], v[2:3], v[156:157], v[0:1]
	ds_load_b128 v[0:3], v18 offset:21120
	s_waitcnt lgkmcnt(0)
	v_mul_f64 v[4:5], v[2:3], v[162:163]
	v_add_f64 v[226:227], v[42:43], -v[196:197]
	v_fma_f64 v[198:199], v[0:1], v[160:161], -v[4:5]
	v_mul_f64 v[0:1], v[0:1], v[162:163]
	s_delay_alu instid0(VALU_DEP_2) | instskip(NEXT) | instid1(VALU_DEP_2)
	v_add_f64 v[14:15], v[32:33], -v[198:199]
	v_fma_f64 v[208:209], v[2:3], v[160:161], v[0:1]
	ds_load_b128 v[0:3], v18 offset:28800
	s_waitcnt vmcnt(1) lgkmcnt(0)
	v_mul_f64 v[4:5], v[0:1], v[166:167]
	s_delay_alu instid0(VALU_DEP_1)
	v_fma_f64 v[210:211], v[2:3], v[164:165], v[4:5]
	v_mul_f64 v[2:3], v[2:3], v[166:167]
	s_waitcnt vmcnt(0)
	ds_load_b128 v[4:7], v44
	s_waitcnt lgkmcnt(0)
	s_waitcnt_vscnt null, 0x0
	s_barrier
	buffer_gl0_inv
	v_add_f64 v[228:229], v[186:187], -v[210:211]
	v_fma_f64 v[212:213], v[0:1], v[164:165], -v[2:3]
	v_add_f64 v[0:1], v[4:5], -v[10:11]
	v_add_f64 v[2:3], v[6:7], -v[12:13]
	;; [unrolled: 1-line block ×5, first 2 shown]
	v_fma_f64 v[168:169], v[4:5], 2.0, -v[0:1]
	v_fma_f64 v[170:171], v[6:7], 2.0, -v[2:3]
	v_add_f64 v[4:5], v[28:29], -v[174:175]
	v_add_f64 v[6:7], v[30:31], -v[180:181]
	v_fma_f64 v[180:181], v[32:33], 2.0, -v[14:15]
	v_fma_f64 v[182:183], v[34:35], 2.0, -v[10:11]
	;; [unrolled: 1-line block ×3, first 2 shown]
	v_add_f64 v[228:229], v[14:15], -v[228:229]
	v_fma_f64 v[34:35], v[184:185], 2.0, -v[230:231]
	v_add_f64 v[184:185], v[168:169], -v[36:37]
	v_add_f64 v[186:187], v[170:171], -v[38:39]
	v_fma_f64 v[172:173], v[28:29], 2.0, -v[4:5]
	v_fma_f64 v[174:175], v[30:31], 2.0, -v[6:7]
	;; [unrolled: 1-line block ×8, first 2 shown]
	v_add_f64 v[198:199], v[182:183], -v[32:33]
	v_add_f64 v[40:41], v[12:13], -v[226:227]
	v_add_f64 v[42:43], v[8:9], v[224:225]
	v_add_f64 v[230:231], v[10:11], v[230:231]
	v_fma_f64 v[14:15], v[14:15], 2.0, -v[228:229]
	v_add_f64 v[196:197], v[180:181], -v[34:35]
	v_add_f64 v[188:189], v[172:173], -v[28:29]
	;; [unrolled: 1-line block ×5, first 2 shown]
	v_fma_f64 v[12:13], v[12:13], 2.0, -v[40:41]
	v_add_f64 v[26:27], v[186:187], v[188:189]
	v_add_f64 v[24:25], v[184:185], -v[190:191]
	v_add_f64 v[28:29], v[192:193], -v[198:199]
	v_add_f64 v[30:31], v[194:195], v[196:197]
	v_fma_f64 v[176:177], v[176:177], 2.0, -v[192:193]
	v_fma_f64 v[178:179], v[178:179], 2.0, -v[194:195]
	s_delay_alu instid0(VALU_DEP_4) | instskip(NEXT) | instid1(VALU_DEP_4)
	v_fma_f64 v[32:33], v[28:29], s[14:15], v[24:25]
	v_fma_f64 v[34:35], v[30:31], s[14:15], v[26:27]
	s_delay_alu instid0(VALU_DEP_2) | instskip(NEXT) | instid1(VALU_DEP_2)
	v_fma_f64 v[208:209], v[30:31], s[8:9], v[32:33]
	v_fma_f64 v[210:211], v[28:29], s[14:15], v[34:35]
	v_fma_f64 v[28:29], v[192:193], 2.0, -v[28:29]
	v_fma_f64 v[30:31], v[194:195], 2.0, -v[30:31]
	;; [unrolled: 1-line block ×4, first 2 shown]
	s_delay_alu instid0(VALU_DEP_2) | instskip(NEXT) | instid1(VALU_DEP_2)
	v_fma_f64 v[36:37], v[28:29], s[8:9], v[32:33]
	v_fma_f64 v[38:39], v[30:31], s[8:9], v[34:35]
	s_delay_alu instid0(VALU_DEP_2) | instskip(NEXT) | instid1(VALU_DEP_2)
	v_fma_f64 v[212:213], v[30:31], s[8:9], v[36:37]
	v_fma_f64 v[214:215], v[28:29], s[14:15], v[38:39]
	v_add_f64 v[28:29], v[0:1], -v[218:219]
	v_add_f64 v[30:31], v[4:5], -v[222:223]
	v_add_f64 v[36:37], v[2:3], v[216:217]
	v_add_f64 v[38:39], v[6:7], v[220:221]
	s_delay_alu instid0(VALU_DEP_3) | instskip(NEXT) | instid1(VALU_DEP_1)
	v_fma_f64 v[216:217], v[30:31], s[14:15], v[28:29]
	v_fma_f64 v[232:233], v[38:39], s[8:9], v[216:217]
	s_delay_alu instid0(VALU_DEP_4) | instskip(NEXT) | instid1(VALU_DEP_2)
	v_fma_f64 v[216:217], v[38:39], s[14:15], v[36:37]
	v_fma_f64 v[236:237], v[28:29], 2.0, -v[232:233]
	s_delay_alu instid0(VALU_DEP_2)
	v_fma_f64 v[234:235], v[30:31], s[14:15], v[216:217]
	v_fma_f64 v[216:217], v[228:229], s[14:15], v[40:41]
	v_fma_f64 v[28:29], v[0:1], 2.0, -v[28:29]
	v_fma_f64 v[0:1], v[4:5], 2.0, -v[30:31]
	v_fma_f64 v[4:5], v[8:9], 2.0, -v[42:43]
	v_fma_f64 v[8:9], v[14:15], s[8:9], v[12:13]
	v_fma_f64 v[238:239], v[36:37], 2.0, -v[234:235]
	v_fma_f64 v[220:221], v[230:231], s[8:9], v[216:217]
	v_fma_f64 v[216:217], v[230:231], s[14:15], v[42:43]
	v_fma_f64 v[36:37], v[2:3], 2.0, -v[36:37]
	v_fma_f64 v[2:3], v[6:7], 2.0, -v[38:39]
	;; [unrolled: 1-line block ×4, first 2 shown]
	v_fma_f64 v[222:223], v[228:229], s[14:15], v[216:217]
	v_fma_f64 v[216:217], v[220:221], s[22:23], v[232:233]
	v_fma_f64 v[10:11], v[2:3], s[8:9], v[36:37]
	v_fma_f64 v[8:9], v[6:7], s[8:9], v[8:9]
	v_fma_f64 v[6:7], v[6:7], s[8:9], v[4:5]
	v_fma_f64 v[218:219], v[222:223], s[22:23], v[234:235]
	v_fma_f64 v[216:217], v[222:223], s[18:19], v[216:217]
	v_fma_f64 v[30:31], v[0:1], s[14:15], v[10:11]
	v_fma_f64 v[0:1], v[0:1], s[8:9], v[28:29]
	v_fma_f64 v[6:7], v[14:15], s[14:15], v[6:7]
	v_fma_f64 v[10:11], v[12:13], 2.0, -v[8:9]
	v_fma_f64 v[218:219], v[220:221], s[20:21], v[218:219]
	v_fma_f64 v[220:221], v[42:43], 2.0, -v[222:223]
	v_fma_f64 v[222:223], v[224:225], s[18:19], v[236:237]
	v_fma_f64 v[38:39], v[2:3], s[8:9], v[0:1]
	;; [unrolled: 1-line block ×3, first 2 shown]
	v_fma_f64 v[4:5], v[4:5], 2.0, -v[6:7]
	v_fma_f64 v[36:37], v[36:37], 2.0, -v[30:31]
	ds_store_b128 v23, v[216:219] offset:14400
	v_fma_f64 v[226:227], v[220:221], s[18:19], v[238:239]
	v_fma_f64 v[220:221], v[220:221], s[16:17], v[222:223]
	;; [unrolled: 1-line block ×4, first 2 shown]
	v_fma_f64 v[28:29], v[28:29], 2.0, -v[38:39]
	v_fma_f64 v[8:9], v[4:5], s[16:17], v[36:37]
	v_fma_f64 v[222:223], v[224:225], s[22:23], v[226:227]
	v_fma_f64 v[224:225], v[24:25], 2.0, -v[208:209]
	v_fma_f64 v[226:227], v[26:27], 2.0, -v[210:211]
	;; [unrolled: 1-line block ×8, first 2 shown]
	v_fma_f64 v[0:1], v[6:7], s[16:17], v[12:13]
	v_fma_f64 v[6:7], v[10:11], s[16:17], v[28:29]
	v_fma_f64 v[12:13], v[236:237], 2.0, -v[220:221]
	v_fma_f64 v[14:15], v[238:239], 2.0, -v[222:223]
	v_add_f64 v[180:181], v[24:25], -v[168:169]
	v_add_f64 v[182:183], v[26:27], -v[170:171]
	;; [unrolled: 1-line block ×4, first 2 shown]
	v_fma_f64 v[4:5], v[4:5], s[18:19], v[6:7]
	v_fma_f64 v[6:7], v[10:11], s[20:21], v[8:9]
	v_fma_f64 v[8:9], v[32:33], 2.0, -v[212:213]
	v_fma_f64 v[10:11], v[34:35], 2.0, -v[214:215]
	;; [unrolled: 1-line block ×4, first 2 shown]
	v_add_f64 v[168:169], v[180:181], -v[184:185]
	v_add_f64 v[170:171], v[182:183], v[186:187]
	ds_store_b128 v23, v[208:211] offset:13440
	v_fma_f64 v[208:209], v[232:233], 2.0, -v[216:217]
	v_fma_f64 v[210:211], v[234:235], 2.0, -v[218:219]
	;; [unrolled: 1-line block ×3, first 2 shown]
	ds_store_b128 v23, v[168:171] offset:11520
	v_fma_f64 v[174:175], v[182:183], 2.0, -v[170:171]
	ds_store_b128 v23, v[224:227] offset:5760
	ds_store_b128 v23, v[208:211] offset:6720
	;; [unrolled: 1-line block ×4, first 2 shown]
	v_fma_f64 v[168:169], v[38:39], 2.0, -v[0:1]
	v_fma_f64 v[170:171], v[30:31], 2.0, -v[2:3]
	ds_store_b128 v23, v[0:3] offset:12480
	ds_store_b128 v23, v[172:175] offset:3840
	v_fma_f64 v[0:1], v[176:177], 2.0, -v[186:187]
	v_fma_f64 v[2:3], v[178:179], 2.0, -v[184:185]
	s_delay_alu instid0(VALU_DEP_2) | instskip(NEXT) | instid1(VALU_DEP_2)
	v_add_f64 v[0:1], v[24:25], -v[0:1]
	v_add_f64 v[2:3], v[26:27], -v[2:3]
	ds_store_b128 v23, v[0:3] offset:7680
	ds_store_b128 v23, v[8:11] offset:1920
	;; [unrolled: 1-line block ×4, first 2 shown]
	v_fma_f64 v[172:173], v[24:25], 2.0, -v[0:1]
	v_fma_f64 v[174:175], v[26:27], 2.0, -v[2:3]
	;; [unrolled: 1-line block ×4, first 2 shown]
	ds_store_b128 v23, v[4:7] offset:8640
	ds_store_b128 v23, v[172:175]
	ds_store_b128 v23, v[0:3] offset:960
	v_lshlrev_b32_e32 v0, 4, v22
	scratch_store_b32 off, v22, off offset:4 ; 4-byte Folded Spill
	s_waitcnt lgkmcnt(0)
	s_waitcnt_vscnt null, 0x0
	s_barrier
	buffer_gl0_inv
	v_add_co_u32 v15, s1, s2, v0
	s_delay_alu instid0(VALU_DEP_1) | instskip(SKIP_1) | instid1(VALU_DEP_2)
	v_add_co_ci_u32_e64 v21, null, s3, 0, s1
	s_add_u32 s2, s12, 0x7800
	v_add_co_u32 v1, s1, 0x3000, v15
	s_delay_alu instid0(VALU_DEP_1) | instskip(SKIP_1) | instid1(VALU_DEP_1)
	v_add_co_ci_u32_e64 v2, s1, 0, v21, s1
	v_add_co_u32 v9, s1, 0x4000, v15
	v_add_co_ci_u32_e64 v10, s1, 0, v21, s1
	global_load_b128 v[168:171], v[1:2], off offset:2912
	s_addc_u32 s3, s13, 0
	ds_load_b128 v[208:211], v18 offset:3840
	s_clause 0x1
	global_load_b128 v[172:175], v[9:10], off offset:736
	global_load_b128 v[176:179], v[9:10], off offset:2656
	ds_load_b128 v[1:4], v18 offset:15360
	ds_load_b128 v[220:223], v18 offset:11520
	;; [unrolled: 1-line block ×3, first 2 shown]
	s_waitcnt vmcnt(2) lgkmcnt(2)
	v_mul_f64 v[5:6], v[3:4], v[170:171]
	s_delay_alu instid0(VALU_DEP_1) | instskip(SKIP_1) | instid1(VALU_DEP_1)
	v_fma_f64 v[5:6], v[1:2], v[168:169], -v[5:6]
	v_mul_f64 v[1:2], v[1:2], v[170:171]
	v_fma_f64 v[7:8], v[3:4], v[168:169], v[1:2]
	ds_load_b128 v[1:4], v18 offset:17280
	s_waitcnt vmcnt(1) lgkmcnt(0)
	v_mul_f64 v[11:12], v[3:4], v[174:175]
	s_delay_alu instid0(VALU_DEP_1) | instskip(SKIP_1) | instid1(VALU_DEP_1)
	v_fma_f64 v[13:14], v[1:2], v[172:173], -v[11:12]
	v_mul_f64 v[1:2], v[1:2], v[174:175]
	v_fma_f64 v[24:25], v[3:4], v[172:173], v[1:2]
	ds_load_b128 v[1:4], v18 offset:19200
	s_waitcnt vmcnt(0) lgkmcnt(0)
	v_mul_f64 v[9:10], v[3:4], v[178:179]
	s_delay_alu instid0(VALU_DEP_1) | instskip(SKIP_1) | instid1(VALU_DEP_1)
	v_fma_f64 v[26:27], v[1:2], v[176:177], -v[9:10]
	v_add_co_u32 v9, s1, 0x5000, v15
	v_add_co_ci_u32_e64 v10, s1, 0, v21, s1
	v_mul_f64 v[1:2], v[1:2], v[178:179]
	s_clause 0x1
	global_load_b128 v[180:183], v[9:10], off offset:480
	global_load_b128 v[184:187], v[9:10], off offset:2400
	v_add_f64 v[240:241], v[208:209], -v[26:27]
	v_fma_f64 v[28:29], v[3:4], v[176:177], v[1:2]
	ds_load_b128 v[1:4], v18 offset:21120
	v_fma_f64 v[244:245], v[208:209], 2.0, -v[240:241]
	v_add_f64 v[242:243], v[210:211], -v[28:29]
	s_delay_alu instid0(VALU_DEP_1) | instskip(SKIP_3) | instid1(VALU_DEP_1)
	v_fma_f64 v[246:247], v[210:211], 2.0, -v[242:243]
	ds_load_b128 v[208:211], v18 offset:5760
	s_waitcnt vmcnt(1) lgkmcnt(1)
	v_mul_f64 v[11:12], v[3:4], v[182:183]
	v_fma_f64 v[30:31], v[1:2], v[180:181], -v[11:12]
	v_mul_f64 v[1:2], v[1:2], v[182:183]
	s_waitcnt lgkmcnt(0)
	s_delay_alu instid0(VALU_DEP_2) | instskip(NEXT) | instid1(VALU_DEP_2)
	v_add_f64 v[248:249], v[208:209], -v[30:31]
	v_fma_f64 v[32:33], v[3:4], v[180:181], v[1:2]
	ds_load_b128 v[1:4], v18 offset:23040
	s_waitcnt vmcnt(0) lgkmcnt(0)
	v_mul_f64 v[9:10], v[3:4], v[186:187]
	v_fma_f64 v[252:253], v[208:209], 2.0, -v[248:249]
	v_add_f64 v[250:251], v[210:211], -v[32:33]
	s_delay_alu instid0(VALU_DEP_3) | instskip(SKIP_1) | instid1(VALU_DEP_1)
	v_fma_f64 v[34:35], v[1:2], v[184:185], -v[9:10]
	v_add_co_u32 v9, s1, 0x6000, v15
	v_add_co_ci_u32_e64 v10, s1, 0, v21, s1
	v_mul_f64 v[1:2], v[1:2], v[186:187]
	s_clause 0x2
	global_load_b128 v[188:191], v[9:10], off offset:224
	global_load_b128 v[192:195], v[9:10], off offset:2144
	global_load_b128 v[196:199], v[9:10], off offset:4064
	v_fma_f64 v[254:255], v[210:211], 2.0, -v[250:251]
	ds_load_b128 v[208:211], v18 offset:7680
	s_waitcnt lgkmcnt(0)
	v_add_f64 v[232:233], v[208:209], -v[34:35]
	v_fma_f64 v[36:37], v[3:4], v[184:185], v[1:2]
	ds_load_b128 v[1:4], v18 offset:24960
	v_add_f64 v[234:235], v[210:211], -v[36:37]
	s_delay_alu instid0(VALU_DEP_1) | instskip(SKIP_2) | instid1(VALU_DEP_1)
	v_fma_f64 v[26:27], v[210:211], 2.0, -v[234:235]
	s_waitcnt vmcnt(2) lgkmcnt(0)
	v_mul_f64 v[11:12], v[3:4], v[190:191]
	v_fma_f64 v[38:39], v[1:2], v[188:189], -v[11:12]
	v_mul_f64 v[1:2], v[1:2], v[190:191]
	s_delay_alu instid0(VALU_DEP_1) | instskip(SKIP_3) | instid1(VALU_DEP_1)
	v_fma_f64 v[40:41], v[3:4], v[188:189], v[1:2]
	ds_load_b128 v[1:4], v18 offset:26880
	s_waitcnt vmcnt(1) lgkmcnt(0)
	v_mul_f64 v[11:12], v[3:4], v[194:195]
	v_fma_f64 v[42:43], v[1:2], v[192:193], -v[11:12]
	v_mul_f64 v[1:2], v[1:2], v[194:195]
	s_delay_alu instid0(VALU_DEP_2) | instskip(NEXT) | instid1(VALU_DEP_2)
	v_add_f64 v[216:217], v[220:221], -v[42:43]
	v_fma_f64 v[218:219], v[3:4], v[192:193], v[1:2]
	ds_load_b128 v[1:4], v18 offset:28800
	s_waitcnt vmcnt(0) lgkmcnt(0)
	v_mul_f64 v[9:10], v[3:4], v[198:199]
	v_fma_f64 v[220:221], v[220:221], 2.0, -v[216:217]
	v_add_f64 v[218:219], v[222:223], -v[218:219]
	s_delay_alu instid0(VALU_DEP_3)
	v_fma_f64 v[228:229], v[1:2], v[196:197], -v[9:10]
	ds_load_b128 v[9:12], v18 offset:1920
	v_mul_f64 v[1:2], v[1:2], v[198:199]
	v_fma_f64 v[222:223], v[222:223], 2.0, -v[218:219]
	s_waitcnt lgkmcnt(0)
	v_add_f64 v[238:239], v[11:12], -v[24:25]
	v_fma_f64 v[24:25], v[208:209], 2.0, -v[232:233]
	ds_load_b128 v[208:211], v18 offset:9600
	v_add_f64 v[236:237], v[9:10], -v[13:14]
	v_add_f64 v[228:229], v[224:225], -v[228:229]
	v_fma_f64 v[230:231], v[3:4], v[196:197], v[1:2]
	ds_load_b128 v[1:4], v44
	s_waitcnt lgkmcnt(1)
	v_add_f64 v[212:213], v[208:209], -v[38:39]
	v_add_f64 v[214:215], v[210:211], -v[40:41]
	v_fma_f64 v[11:12], v[11:12], 2.0, -v[238:239]
	s_waitcnt lgkmcnt(0)
	v_add_f64 v[5:6], v[1:2], -v[5:6]
	v_add_f64 v[7:8], v[3:4], -v[7:8]
	v_fma_f64 v[9:10], v[9:10], 2.0, -v[236:237]
	v_fma_f64 v[224:225], v[224:225], 2.0, -v[228:229]
	v_add_f64 v[230:231], v[226:227], -v[230:231]
	v_fma_f64 v[208:209], v[208:209], 2.0, -v[212:213]
	v_fma_f64 v[210:211], v[210:211], 2.0, -v[214:215]
	;; [unrolled: 1-line block ×4, first 2 shown]
	ds_store_b128 v44, v[1:4]
	ds_store_b128 v18, v[9:12] offset:1920
	ds_store_b128 v18, v[244:247] offset:3840
	;; [unrolled: 1-line block ×9, first 2 shown]
	v_fma_f64 v[226:227], v[226:227], 2.0, -v[230:231]
	ds_store_b128 v18, v[208:211] offset:9600
	ds_store_b128 v18, v[220:223] offset:11520
	;; [unrolled: 1-line block ×6, first 2 shown]
	s_waitcnt lgkmcnt(0)
	s_barrier
	buffer_gl0_inv
	global_load_b128 v[1:4], v0, s[2:3]
	ds_load_b128 v[5:8], v44
	s_waitcnt vmcnt(0) lgkmcnt(0)
	v_mul_f64 v[9:10], v[7:8], v[3:4]
	v_mul_f64 v[11:12], v[5:6], v[3:4]
	s_delay_alu instid0(VALU_DEP_2) | instskip(NEXT) | instid1(VALU_DEP_2)
	v_fma_f64 v[3:4], v[5:6], v[1:2], -v[9:10]
	v_fma_f64 v[5:6], v[7:8], v[1:2], v[11:12]
	ds_store_b128 v44, v[3:6]
	global_load_b128 v[1:4], v0, s[2:3] offset:3072
	v_add_co_u32 v0, s1, s2, v0
	ds_load_b128 v[5:8], v18 offset:3072
	ds_load_b128 v[232:235], v18 offset:9216
	ds_load_b128 v[240:243], v18 offset:15360
	ds_load_b128 v[244:247], v18 offset:18432
	ds_load_b128 v[252:255], v18 offset:21504
	ds_load_b128 v[32:35], v18 offset:24576
	ds_load_b128 v[38:41], v18 offset:27648
	ds_load_b128 v[236:239], v18 offset:12288
	s_waitcnt vmcnt(0) lgkmcnt(7)
	v_mul_f64 v[9:10], v[7:8], v[3:4]
	v_mul_f64 v[3:4], v[5:6], v[3:4]
	s_delay_alu instid0(VALU_DEP_2) | instskip(NEXT) | instid1(VALU_DEP_2)
	v_fma_f64 v[10:11], v[5:6], v[1:2], -v[9:10]
	v_fma_f64 v[12:13], v[7:8], v[1:2], v[3:4]
	scratch_load_b32 v1, off, off offset:228 ; 4-byte Folded Reload
	ds_load_b128 v[5:8], v18 offset:6144
	s_waitcnt vmcnt(0)
	global_load_b128 v[1:4], v1, s[2:3]
	s_waitcnt vmcnt(0) lgkmcnt(0)
	v_mul_f64 v[14:15], v[7:8], v[3:4]
	v_mul_f64 v[3:4], v[5:6], v[3:4]
	s_delay_alu instid0(VALU_DEP_2) | instskip(NEXT) | instid1(VALU_DEP_2)
	v_fma_f64 v[24:25], v[5:6], v[1:2], -v[14:15]
	v_fma_f64 v[26:27], v[7:8], v[1:2], v[3:4]
	v_add_co_ci_u32_e64 v1, null, s3, 0, s1
	v_add_co_u32 v8, s1, 0x2000, v0
	s_delay_alu instid0(VALU_DEP_1) | instskip(SKIP_4) | instid1(VALU_DEP_2)
	v_add_co_ci_u32_e64 v9, s1, 0, v1, s1
	global_load_b128 v[2:5], v[8:9], off offset:1024
	s_waitcnt vmcnt(0)
	v_mul_f64 v[6:7], v[234:235], v[4:5]
	v_mul_f64 v[4:5], v[232:233], v[4:5]
	v_fma_f64 v[232:233], v[232:233], v[2:3], -v[6:7]
	s_delay_alu instid0(VALU_DEP_2)
	v_fma_f64 v[234:235], v[234:235], v[2:3], v[4:5]
	scratch_load_b32 v2, off, off offset:272 ; 4-byte Folded Reload
	s_waitcnt vmcnt(0)
	global_load_b128 v[2:5], v2, s[2:3]
	s_waitcnt vmcnt(0)
	v_mul_f64 v[6:7], v[238:239], v[4:5]
	v_mul_f64 v[4:5], v[236:237], v[4:5]
	s_delay_alu instid0(VALU_DEP_2) | instskip(SKIP_1) | instid1(VALU_DEP_3)
	v_fma_f64 v[236:237], v[236:237], v[2:3], -v[6:7]
	v_add_co_u32 v6, s1, 0x3000, v0
	v_fma_f64 v[238:239], v[238:239], v[2:3], v[4:5]
	v_add_co_ci_u32_e64 v7, s1, 0, v1, s1
	global_load_b128 v[2:5], v[6:7], off offset:3072
	s_waitcnt vmcnt(0)
	v_mul_f64 v[14:15], v[242:243], v[4:5]
	v_mul_f64 v[4:5], v[240:241], v[4:5]
	s_delay_alu instid0(VALU_DEP_2) | instskip(NEXT) | instid1(VALU_DEP_2)
	v_fma_f64 v[240:241], v[240:241], v[2:3], -v[14:15]
	v_fma_f64 v[242:243], v[242:243], v[2:3], v[4:5]
	scratch_load_b32 v2, off, off offset:268 ; 4-byte Folded Reload
	s_waitcnt vmcnt(0)
	global_load_b128 v[2:5], v2, s[2:3]
	s_waitcnt vmcnt(0)
	v_mul_f64 v[14:15], v[246:247], v[4:5]
	v_mul_f64 v[4:5], v[244:245], v[4:5]
	s_delay_alu instid0(VALU_DEP_2) | instskip(NEXT) | instid1(VALU_DEP_2)
	v_fma_f64 v[244:245], v[244:245], v[2:3], -v[14:15]
	v_fma_f64 v[246:247], v[246:247], v[2:3], v[4:5]
	v_add_co_u32 v4, s1, 0x5000, v0
	s_delay_alu instid0(VALU_DEP_1) | instskip(SKIP_4) | instid1(VALU_DEP_2)
	v_add_co_ci_u32_e64 v5, s1, 0, v1, s1
	global_load_b128 v[248:251], v[4:5], off offset:1024
	s_waitcnt vmcnt(0)
	v_mul_f64 v[2:3], v[254:255], v[250:251]
	v_mul_f64 v[14:15], v[252:253], v[250:251]
	v_fma_f64 v[250:251], v[252:253], v[248:249], -v[2:3]
	scratch_load_b32 v2, off, off offset:276 ; 4-byte Folded Reload
	v_fma_f64 v[252:253], v[254:255], v[248:249], v[14:15]
	s_waitcnt vmcnt(0)
	global_load_b128 v[28:31], v2, s[2:3]
	s_waitcnt vmcnt(0)
	v_mul_f64 v[2:3], v[34:35], v[30:31]
	v_mul_f64 v[14:15], v[32:33], v[30:31]
	s_delay_alu instid0(VALU_DEP_2) | instskip(SKIP_1) | instid1(VALU_DEP_1)
	v_fma_f64 v[30:31], v[32:33], v[28:29], -v[2:3]
	v_add_co_u32 v2, s1, 0x6000, v0
	v_add_co_ci_u32_e64 v3, s1, 0, v1, s1
	s_delay_alu instid0(VALU_DEP_4) | instskip(SKIP_4) | instid1(VALU_DEP_2)
	v_fma_f64 v[32:33], v[34:35], v[28:29], v[14:15]
	global_load_b128 v[34:37], v[2:3], off offset:3072
	s_waitcnt vmcnt(0)
	v_mul_f64 v[14:15], v[40:41], v[36:37]
	v_mul_f64 v[28:29], v[38:39], v[36:37]
	v_fma_f64 v[36:37], v[38:39], v[34:35], -v[14:15]
	s_delay_alu instid0(VALU_DEP_2)
	v_fma_f64 v[38:39], v[40:41], v[34:35], v[28:29]
	ds_store_b128 v18, v[10:13] offset:3072
	ds_store_b128 v18, v[24:27] offset:6144
	;; [unrolled: 1-line block ×9, first 2 shown]
	s_and_saveexec_b32 s2, vcc_lo
	s_cbranch_execz .LBB0_13
; %bb.12:
	s_clause 0x4
	global_load_b128 v[10:13], v[0:1], off offset:1920
	global_load_b128 v[24:27], v[8:9], off offset:2944
	;; [unrolled: 1-line block ×5, first 2 shown]
	ds_load_b128 v[32:35], v18 offset:1920
	ds_load_b128 v[40:43], v18 offset:4992
	v_add_co_u32 v232, s1, 0x1000, v0
	s_delay_alu instid0(VALU_DEP_1)
	v_add_co_ci_u32_e64 v233, s1, 0, v1, s1
	ds_load_b128 v[240:243], v18 offset:20352
	ds_load_b128 v[236:239], v18 offset:17280
	s_waitcnt vmcnt(4) lgkmcnt(3)
	v_mul_f64 v[36:37], v[34:35], v[12:13]
	v_mul_f64 v[38:39], v[32:33], v[12:13]
	ds_load_b128 v[12:15], v18 offset:11136
	v_fma_f64 v[32:33], v[32:33], v[10:11], -v[36:37]
	v_fma_f64 v[34:35], v[34:35], v[10:11], v[38:39]
	ds_load_b128 v[36:39], v18 offset:14208
	s_waitcnt vmcnt(3) lgkmcnt(1)
	v_mul_f64 v[10:11], v[14:15], v[26:27]
	v_mul_f64 v[26:27], v[12:13], v[26:27]
	s_delay_alu instid0(VALU_DEP_2) | instskip(NEXT) | instid1(VALU_DEP_2)
	v_fma_f64 v[10:11], v[12:13], v[24:25], -v[10:11]
	v_fma_f64 v[12:13], v[14:15], v[24:25], v[26:27]
	s_waitcnt vmcnt(2) lgkmcnt(0)
	v_mul_f64 v[14:15], v[38:39], v[8:9]
	v_mul_f64 v[8:9], v[36:37], v[8:9]
	ds_load_b128 v[24:27], v18 offset:23424
	v_fma_f64 v[36:37], v[36:37], v[6:7], -v[14:15]
	s_waitcnt vmcnt(1) lgkmcnt(0)
	v_mul_f64 v[14:15], v[26:27], v[30:31]
	v_mul_f64 v[30:31], v[24:25], v[30:31]
	v_fma_f64 v[38:39], v[38:39], v[6:7], v[8:9]
	ds_load_b128 v[6:9], v18 offset:26496
	v_fma_f64 v[24:25], v[24:25], v[28:29], -v[14:15]
	v_fma_f64 v[26:27], v[26:27], v[28:29], v[30:31]
	s_waitcnt vmcnt(0) lgkmcnt(0)
	v_mul_f64 v[14:15], v[8:9], v[4:5]
	v_mul_f64 v[28:29], v[6:7], v[4:5]
	s_delay_alu instid0(VALU_DEP_2) | instskip(NEXT) | instid1(VALU_DEP_2)
	v_fma_f64 v[4:5], v[6:7], v[2:3], -v[14:15]
	v_fma_f64 v[6:7], v[8:9], v[2:3], v[28:29]
	global_load_b128 v[28:31], v[232:233], off offset:896
	s_waitcnt vmcnt(0)
	v_mul_f64 v[2:3], v[42:43], v[30:31]
	v_mul_f64 v[8:9], v[40:41], v[30:31]
	s_delay_alu instid0(VALU_DEP_2) | instskip(NEXT) | instid1(VALU_DEP_2)
	v_fma_f64 v[40:41], v[40:41], v[28:29], -v[2:3]
	v_fma_f64 v[42:43], v[42:43], v[28:29], v[8:9]
	global_load_b128 v[28:31], v[232:233], off offset:3968
	ds_load_b128 v[232:235], v18 offset:8064
	s_waitcnt vmcnt(0) lgkmcnt(0)
	v_mul_f64 v[2:3], v[234:235], v[30:31]
	v_mul_f64 v[8:9], v[232:233], v[30:31]
	s_delay_alu instid0(VALU_DEP_2) | instskip(SKIP_1) | instid1(VALU_DEP_1)
	v_fma_f64 v[232:233], v[232:233], v[28:29], -v[2:3]
	v_add_co_u32 v2, s1, 0x4000, v0
	v_add_co_ci_u32_e64 v3, s1, 0, v1, s1
	s_delay_alu instid0(VALU_DEP_4)
	v_fma_f64 v[234:235], v[234:235], v[28:29], v[8:9]
	v_add_co_u32 v0, s1, 0x7000, v0
	global_load_b128 v[28:31], v[2:3], off offset:896
	v_add_co_ci_u32_e64 v1, s1, 0, v1, s1
	s_waitcnt vmcnt(0)
	v_mul_f64 v[8:9], v[238:239], v[30:31]
	v_mul_f64 v[14:15], v[236:237], v[30:31]
	s_delay_alu instid0(VALU_DEP_2) | instskip(NEXT) | instid1(VALU_DEP_2)
	v_fma_f64 v[236:237], v[236:237], v[28:29], -v[8:9]
	v_fma_f64 v[238:239], v[238:239], v[28:29], v[14:15]
	global_load_b128 v[28:31], v[2:3], off offset:3968
	s_waitcnt vmcnt(0)
	v_mul_f64 v[2:3], v[242:243], v[30:31]
	v_mul_f64 v[8:9], v[240:241], v[30:31]
	s_delay_alu instid0(VALU_DEP_2)
	v_fma_f64 v[240:241], v[240:241], v[28:29], -v[2:3]
	global_load_b128 v[0:3], v[0:1], off offset:896
	v_fma_f64 v[242:243], v[242:243], v[28:29], v[8:9]
	ds_load_b128 v[28:31], v18 offset:29568
	s_waitcnt vmcnt(0) lgkmcnt(0)
	v_mul_f64 v[8:9], v[30:31], v[2:3]
	v_mul_f64 v[2:3], v[28:29], v[2:3]
	s_delay_alu instid0(VALU_DEP_2) | instskip(NEXT) | instid1(VALU_DEP_2)
	v_fma_f64 v[28:29], v[28:29], v[0:1], -v[8:9]
	v_fma_f64 v[30:31], v[30:31], v[0:1], v[2:3]
	ds_store_b128 v18, v[32:35] offset:1920
	ds_store_b128 v18, v[10:13] offset:11136
	;; [unrolled: 1-line block ×10, first 2 shown]
.LBB0_13:
	s_or_b32 exec_lo, exec_lo, s2
	s_waitcnt lgkmcnt(0)
	s_barrier
	buffer_gl0_inv
	scratch_load_b32 v0, off, off           ; 4-byte Folded Reload
	s_waitcnt vmcnt(0)
	ds_load_b128 v[4:7], v0
	ds_load_b128 v[0:3], v18 offset:3072
	ds_load_b128 v[248:251], v18 offset:6144
	;; [unrolled: 1-line block ×9, first 2 shown]
	s_and_saveexec_b32 s1, vcc_lo
	s_cbranch_execz .LBB0_15
; %bb.14:
	s_clause 0x1
	scratch_load_b32 v21, off, off offset:8
	scratch_load_b32 v22, off, off offset:4
	s_waitcnt vmcnt(1)
	v_lshlrev_b32_e32 v21, 4, v21
	s_waitcnt vmcnt(0)
	s_delay_alu instid0(VALU_DEP_1)
	v_lshl_add_u32 v21, v22, 4, v21
	ds_load_b128 v[208:211], v18 offset:1920
	ds_load_b128 v[212:215], v21 offset:4992
	;; [unrolled: 1-line block ×10, first 2 shown]
.LBB0_15:
	s_or_b32 exec_lo, exec_lo, s1
	s_waitcnt lgkmcnt(7)
	v_add_f64 v[24:25], v[4:5], v[248:249]
	v_add_f64 v[26:27], v[6:7], v[250:251]
	s_waitcnt lgkmcnt(3)
	v_add_f64 v[28:29], v[252:253], v[240:241]
	v_add_f64 v[30:31], v[254:255], -v[242:243]
	v_add_f64 v[32:33], v[248:249], -v[252:253]
	;; [unrolled: 1-line block ×3, first 2 shown]
	v_add_f64 v[36:37], v[254:255], v[242:243]
	v_add_f64 v[38:39], v[252:253], -v[240:241]
	v_add_f64 v[40:41], v[250:251], -v[254:255]
	;; [unrolled: 1-line block ×3, first 2 shown]
	s_waitcnt lgkmcnt(1)
	v_add_f64 v[21:22], v[250:251], -v[246:247]
	v_add_f64 v[44:45], v[248:249], -v[244:245]
	v_add_f64 v[46:47], v[250:251], v[246:247]
	v_add_f64 v[250:251], v[240:241], -v[244:245]
	v_add_f64 v[50:51], v[232:233], -v[236:237]
	;; [unrolled: 1-line block ×3, first 2 shown]
	v_add_f64 v[54:55], v[238:239], v[10:11]
	v_add_f64 v[56:57], v[236:237], -v[8:9]
	s_waitcnt lgkmcnt(0)
	v_add_f64 v[64:65], v[232:233], -v[12:13]
	v_add_f64 v[58:59], v[234:235], -v[238:239]
	;; [unrolled: 1-line block ×4, first 2 shown]
	v_add_f64 v[66:67], v[234:235], v[14:15]
	s_mov_b32 s12, 0x134454ff
	s_mov_b32 s13, 0xbfee6f0e
	s_mov_b32 s15, 0x3fee6f0e
	s_mov_b32 s14, s12
	v_add_f64 v[48:49], v[238:239], -v[10:11]
	s_mov_b32 s2, 0x4755a5e
	s_mov_b32 s3, 0xbfe2cf23
	;; [unrolled: 1-line block ×10, first 2 shown]
	v_add_f64 v[24:25], v[24:25], v[252:253]
	v_add_f64 v[26:27], v[26:27], v[254:255]
	;; [unrolled: 1-line block ×3, first 2 shown]
	v_add_f64 v[248:249], v[244:245], -v[240:241]
	v_add_f64 v[254:255], v[242:243], -v[246:247]
	v_fma_f64 v[28:29], v[28:29], -0.5, v[4:5]
	v_fma_f64 v[36:37], v[36:37], -0.5, v[6:7]
	s_mov_b32 s23, 0xbfe9e377
	s_mov_b32 s22, s16
	s_barrier
	buffer_gl0_inv
	v_fma_f64 v[6:7], v[46:47], -0.5, v[6:7]
	v_fma_f64 v[46:47], v[54:55], -0.5, v[2:3]
	v_add_f64 v[24:25], v[24:25], v[240:241]
	v_add_f64 v[26:27], v[26:27], v[242:243]
	v_add_f64 v[240:241], v[246:247], -v[242:243]
	v_add_f64 v[242:243], v[0:1], v[232:233]
	v_fma_f64 v[4:5], v[252:253], -0.5, v[4:5]
	v_add_f64 v[24:25], v[24:25], v[244:245]
	v_add_f64 v[244:245], v[2:3], v[234:235]
	v_add_f64 v[26:27], v[26:27], v[246:247]
	v_add_f64 v[242:243], v[242:243], v[236:237]
	v_add_f64 v[246:247], v[236:237], v[8:9]
	v_add_f64 v[236:237], v[232:233], v[12:13]
	v_fma_f64 v[2:3], v[66:67], -0.5, v[2:3]
	v_add_f64 v[66:67], v[230:231], -v[202:203]
	v_add_f64 v[244:245], v[244:245], v[238:239]
	v_add_f64 v[232:233], v[242:243], v[8:9]
	v_add_f64 v[242:243], v[12:13], -v[8:9]
	v_add_f64 v[8:9], v[8:9], -v[12:13]
	v_fma_f64 v[54:55], v[246:247], -0.5, v[0:1]
	v_fma_f64 v[0:1], v[236:237], -0.5, v[0:1]
	v_add_f64 v[234:235], v[244:245], v[10:11]
	v_add_f64 v[244:245], v[14:15], -v[10:11]
	v_add_f64 v[12:13], v[232:233], v[12:13]
	v_add_f64 v[10:11], v[10:11], -v[14:15]
	v_add_f64 v[8:9], v[52:53], v[8:9]
	v_fma_f64 v[52:53], v[38:39], s[12:13], v[6:7]
	v_add_f64 v[14:15], v[234:235], v[14:15]
	v_add_f64 v[232:233], v[24:25], v[12:13]
	v_add_f64 v[236:237], v[24:25], -v[12:13]
	v_add_f64 v[12:13], v[32:33], v[248:249]
	v_fma_f64 v[32:33], v[64:65], s[14:15], v[46:47]
	v_add_f64 v[24:25], v[50:51], v[242:243]
	v_add_f64 v[10:11], v[60:61], v[10:11]
	v_fma_f64 v[52:53], v[44:45], s[8:9], v[52:53]
	v_add_f64 v[60:61], v[216:217], -v[76:77]
	v_add_f64 v[234:235], v[26:27], v[14:15]
	v_add_f64 v[238:239], v[26:27], -v[14:15]
	v_add_f64 v[14:15], v[40:41], v[240:241]
	v_add_f64 v[26:27], v[58:59], v[244:245]
	v_fma_f64 v[40:41], v[62:63], s[12:13], v[54:55]
	v_fma_f64 v[32:33], v[56:57], s[8:9], v[32:33]
	;; [unrolled: 1-line block ×3, first 2 shown]
	s_delay_alu instid0(VALU_DEP_3) | instskip(NEXT) | instid1(VALU_DEP_3)
	v_fma_f64 v[40:41], v[48:49], s[2:3], v[40:41]
	v_fma_f64 v[32:33], v[26:27], s[18:19], v[32:33]
	s_delay_alu instid0(VALU_DEP_3) | instskip(NEXT) | instid1(VALU_DEP_3)
	v_fma_f64 v[58:59], v[38:39], s[8:9], v[58:59]
	v_fma_f64 v[40:41], v[24:25], s[18:19], v[40:41]
	s_delay_alu instid0(VALU_DEP_3) | instskip(NEXT) | instid1(VALU_DEP_3)
	v_mul_f64 v[50:51], v[32:33], s[2:3]
	v_fma_f64 v[58:59], v[14:15], s[18:19], v[58:59]
	s_delay_alu instid0(VALU_DEP_2) | instskip(SKIP_1) | instid1(VALU_DEP_1)
	v_fma_f64 v[50:51], v[40:41], s[16:17], v[50:51]
	v_mul_f64 v[40:41], v[40:41], s[8:9]
	v_fma_f64 v[32:33], v[32:33], s[16:17], v[40:41]
	v_fma_f64 v[40:41], v[21:22], s[12:13], v[28:29]
	s_delay_alu instid0(VALU_DEP_2) | instskip(NEXT) | instid1(VALU_DEP_2)
	v_add_f64 v[246:247], v[58:59], v[32:33]
	v_fma_f64 v[40:41], v[30:31], s[2:3], v[40:41]
	v_add_f64 v[242:243], v[58:59], -v[32:33]
	v_add_f64 v[32:33], v[34:35], v[250:251]
	v_add_f64 v[34:35], v[42:43], v[254:255]
	v_fma_f64 v[42:43], v[48:49], s[14:15], v[0:1]
	v_fma_f64 v[0:1], v[48:49], s[12:13], v[0:1]
	v_add_f64 v[58:59], v[228:229], -v[216:217]
	v_fma_f64 v[40:41], v[12:13], s[18:19], v[40:41]
	v_fma_f64 v[52:53], v[34:35], s[18:19], v[52:53]
	;; [unrolled: 1-line block ×4, first 2 shown]
	s_delay_alu instid0(VALU_DEP_4)
	v_add_f64 v[244:245], v[40:41], v[50:51]
	v_add_f64 v[240:241], v[40:41], -v[50:51]
	v_fma_f64 v[40:41], v[56:57], s[12:13], v[2:3]
	v_fma_f64 v[2:3], v[56:57], s[14:15], v[2:3]
	;; [unrolled: 1-line block ×4, first 2 shown]
	s_delay_alu instid0(VALU_DEP_4) | instskip(NEXT) | instid1(VALU_DEP_4)
	v_fma_f64 v[40:41], v[64:65], s[8:9], v[40:41]
	v_fma_f64 v[2:3], v[64:65], s[2:3], v[2:3]
	s_delay_alu instid0(VALU_DEP_2) | instskip(NEXT) | instid1(VALU_DEP_2)
	v_fma_f64 v[40:41], v[10:11], s[18:19], v[40:41]
	v_fma_f64 v[2:3], v[10:11], s[18:19], v[2:3]
	;; [unrolled: 1-line block ×4, first 2 shown]
	v_add_f64 v[54:55], v[218:219], -v[78:79]
	v_add_f64 v[62:63], v[218:219], -v[230:231]
	v_mul_f64 v[50:51], v[40:41], s[12:13]
	v_mul_f64 v[40:41], v[40:41], s[18:19]
	v_fma_f64 v[10:11], v[30:31], s[8:9], v[10:11]
	v_fma_f64 v[28:29], v[48:49], s[8:9], v[28:29]
	s_delay_alu instid0(VALU_DEP_4) | instskip(NEXT) | instid1(VALU_DEP_4)
	v_fma_f64 v[50:51], v[42:43], s[18:19], v[50:51]
	v_fma_f64 v[40:41], v[42:43], s[14:15], v[40:41]
	;; [unrolled: 1-line block ×6, first 2 shown]
	v_add_f64 v[28:29], v[220:221], -v[72:73]
	v_add_f64 v[30:31], v[222:223], -v[226:227]
	v_add_f64 v[254:255], v[52:53], v[40:41]
	v_fma_f64 v[42:43], v[21:22], s[2:3], v[42:43]
	v_fma_f64 v[4:5], v[21:22], s[8:9], v[4:5]
	v_fma_f64 v[21:22], v[44:45], s[12:13], v[36:37]
	v_add_f64 v[250:251], v[52:53], -v[40:41]
	v_add_f64 v[36:37], v[224:225], -v[204:205]
	v_add_f64 v[40:41], v[204:205], -v[72:73]
	v_fma_f64 v[42:43], v[32:33], s[18:19], v[42:43]
	v_fma_f64 v[32:33], v[32:33], s[18:19], v[4:5]
	;; [unrolled: 1-line block ×4, first 2 shown]
	v_add_f64 v[38:39], v[72:73], -v[204:205]
	v_add_f64 v[252:253], v[42:43], v[50:51]
	v_add_f64 v[248:249], v[42:43], -v[50:51]
	v_fma_f64 v[4:5], v[44:45], s[2:3], v[4:5]
	v_fma_f64 v[21:22], v[14:15], s[18:19], v[21:22]
	v_add_f64 v[42:43], v[74:75], -v[206:207]
	v_add_f64 v[44:45], v[206:207], -v[74:75]
	s_delay_alu instid0(VALU_DEP_4) | instskip(SKIP_3) | instid1(VALU_DEP_3)
	v_fma_f64 v[34:35], v[34:35], s[18:19], v[4:5]
	v_mul_f64 v[4:5], v[2:3], s[12:13]
	v_mul_f64 v[2:3], v[2:3], s[20:21]
	v_add_f64 v[30:31], v[42:43], v[30:31]
	v_fma_f64 v[8:9], v[0:1], s[20:21], v[4:5]
	s_delay_alu instid0(VALU_DEP_3) | instskip(NEXT) | instid1(VALU_DEP_2)
	v_fma_f64 v[2:3], v[0:1], s[14:15], v[2:3]
	v_add_f64 v[4:5], v[32:33], v[8:9]
	v_add_f64 v[0:1], v[32:33], -v[8:9]
	v_fma_f64 v[8:9], v[64:65], s[12:13], v[46:47]
	s_delay_alu instid0(VALU_DEP_4)
	v_add_f64 v[6:7], v[34:35], v[2:3]
	v_add_f64 v[2:3], v[34:35], -v[2:3]
	v_add_f64 v[32:33], v[226:227], -v[222:223]
	;; [unrolled: 1-line block ×4, first 2 shown]
	v_fma_f64 v[8:9], v[56:57], s[2:3], v[8:9]
	v_add_f64 v[56:57], v[216:217], -v[228:229]
	v_add_f64 v[32:33], v[44:45], v[32:33]
	s_delay_alu instid0(VALU_DEP_3) | instskip(NEXT) | instid1(VALU_DEP_1)
	v_fma_f64 v[8:9], v[26:27], s[18:19], v[8:9]
	v_mul_f64 v[14:15], v[8:9], s[2:3]
	v_mul_f64 v[8:9], v[8:9], s[22:23]
	s_delay_alu instid0(VALU_DEP_2) | instskip(NEXT) | instid1(VALU_DEP_2)
	v_fma_f64 v[24:25], v[12:13], s[22:23], v[14:15]
	v_fma_f64 v[26:27], v[12:13], s[8:9], v[8:9]
	s_delay_alu instid0(VALU_DEP_2) | instskip(NEXT) | instid1(VALU_DEP_2)
	v_add_f64 v[12:13], v[10:11], v[24:25]
	v_add_f64 v[14:15], v[21:22], v[26:27]
	v_add_f64 v[8:9], v[10:11], -v[24:25]
	v_add_f64 v[10:11], v[21:22], -v[26:27]
	;; [unrolled: 1-line block ×4, first 2 shown]
	ds_store_b128 v20, v[232:235]
	ds_store_b128 v20, v[236:239] offset:80
	ds_store_b128 v20, v[244:247] offset:16
	;; [unrolled: 1-line block ×9, first 2 shown]
	v_add_f64 v[0:1], v[204:205], v[224:225]
	v_add_f64 v[4:5], v[228:229], v[200:201]
	;; [unrolled: 1-line block ×3, first 2 shown]
	v_add_f64 v[20:21], v[222:223], -v[74:75]
	v_add_f64 v[6:7], v[218:219], v[214:215]
	v_add_f64 v[26:27], v[40:41], v[26:27]
	v_add_f64 v[24:25], v[38:39], v[24:25]
	v_fma_f64 v[8:9], v[0:1], -0.5, v[208:209]
	v_add_f64 v[0:1], v[72:73], v[220:221]
	v_fma_f64 v[46:47], v[4:5], -0.5, v[212:213]
	v_add_f64 v[4:5], v[76:77], v[216:217]
	v_add_f64 v[2:3], v[226:227], v[2:3]
	v_add_f64 v[6:7], v[230:231], v[6:7]
	v_fma_f64 v[10:11], v[0:1], -0.5, v[208:209]
	v_add_f64 v[0:1], v[206:207], v[226:227]
	v_fma_f64 v[48:49], v[4:5], -0.5, v[212:213]
	;; [unrolled: 6-line block ×3, first 2 shown]
	v_add_f64 v[4:5], v[78:79], v[218:219]
	v_add_f64 v[2:3], v[74:75], v[2:3]
	v_add_f64 v[74:75], v[202:203], -v[78:79]
	v_add_f64 v[202:203], v[78:79], -v[202:203]
	v_add_f64 v[6:7], v[78:79], v[6:7]
	v_fma_f64 v[14:15], v[0:1], -0.5, v[210:211]
	v_add_f64 v[0:1], v[220:221], v[208:209]
	v_fma_f64 v[52:53], v[4:5], -0.5, v[214:215]
	v_add_f64 v[4:5], v[216:217], v[212:213]
	v_add_f64 v[44:45], v[74:75], v[64:65]
	v_fma_f64 v[64:65], v[66:67], s[14:15], v[48:49]
	v_fma_f64 v[48:49], v[66:67], s[12:13], v[48:49]
	v_add_f64 v[42:43], v[202:203], v[62:63]
	v_add_f64 v[210:211], v[2:3], -v[6:7]
	v_add_f64 v[0:1], v[224:225], v[0:1]
	v_add_f64 v[4:5], v[228:229], v[4:5]
	v_fma_f64 v[64:65], v[54:55], s[2:3], v[64:65]
	v_fma_f64 v[48:49], v[54:55], s[8:9], v[48:49]
	s_delay_alu instid0(VALU_DEP_4) | instskip(SKIP_2) | instid1(VALU_DEP_3)
	v_add_f64 v[0:1], v[204:205], v[0:1]
	v_add_f64 v[204:205], v[228:229], -v[200:201]
	v_add_f64 v[4:5], v[200:201], v[4:5]
	v_add_f64 v[0:1], v[72:73], v[0:1]
	v_add_f64 v[72:73], v[200:201], -v[76:77]
	v_add_f64 v[200:201], v[76:77], -v[200:201]
	s_delay_alu instid0(VALU_DEP_4) | instskip(NEXT) | instid1(VALU_DEP_3)
	v_add_f64 v[4:5], v[76:77], v[4:5]
	v_add_f64 v[40:41], v[72:73], v[58:59]
	v_fma_f64 v[58:59], v[204:205], s[12:13], v[52:53]
	s_delay_alu instid0(VALU_DEP_4)
	v_add_f64 v[38:39], v[200:201], v[56:57]
	v_fma_f64 v[56:57], v[20:21], s[12:13], v[8:9]
	v_fma_f64 v[8:9], v[20:21], s[14:15], v[8:9]
	v_add_f64 v[208:209], v[0:1], -v[4:5]
	v_fma_f64 v[64:65], v[40:41], s[18:19], v[64:65]
	v_fma_f64 v[58:59], v[60:61], s[8:9], v[58:59]
	v_fma_f64 v[56:57], v[34:35], s[2:3], v[56:57]
	v_fma_f64 v[8:9], v[34:35], s[8:9], v[8:9]
	s_delay_alu instid0(VALU_DEP_3) | instskip(NEXT) | instid1(VALU_DEP_2)
	v_fma_f64 v[58:59], v[44:45], s[18:19], v[58:59]
	v_fma_f64 v[8:9], v[24:25], s[18:19], v[8:9]
	s_delay_alu instid0(VALU_DEP_2) | instskip(SKIP_1) | instid1(VALU_DEP_2)
	v_mul_f64 v[72:73], v[58:59], s[12:13]
	v_mul_f64 v[58:59], v[58:59], s[18:19]
	v_fma_f64 v[76:77], v[64:65], s[18:19], v[72:73]
	s_delay_alu instid0(VALU_DEP_2) | instskip(SKIP_4) | instid1(VALU_DEP_4)
	v_fma_f64 v[58:59], v[64:65], s[14:15], v[58:59]
	v_fma_f64 v[64:65], v[34:35], s[14:15], v[10:11]
	;; [unrolled: 1-line block ×6, first 2 shown]
	s_delay_alu instid0(VALU_DEP_4)
	v_fma_f64 v[20:21], v[20:21], s[8:9], v[10:11]
	v_fma_f64 v[10:11], v[28:29], s[14:15], v[12:13]
	;; [unrolled: 1-line block ×16, first 2 shown]
	v_add_f64 v[72:73], v[64:65], v[76:77]
	v_add_f64 v[76:77], v[64:65], -v[76:77]
	v_fma_f64 v[216:217], v[30:31], s[18:19], v[34:35]
	v_fma_f64 v[10:11], v[60:61], s[2:3], v[10:11]
	;; [unrolled: 1-line block ×9, first 2 shown]
	v_add_f64 v[74:75], v[78:79], v[58:59]
	v_add_f64 v[78:79], v[78:79], -v[58:59]
	v_fma_f64 v[44:45], v[44:45], s[18:19], v[10:11]
	v_fma_f64 v[10:11], v[24:25], s[18:19], v[56:57]
	v_fma_f64 v[28:29], v[42:43], s[18:19], v[52:53]
	v_fma_f64 v[24:25], v[38:39], s[18:19], v[46:47]
	v_fma_f64 v[20:21], v[38:39], s[18:19], v[50:51]
	v_mul_f64 v[32:33], v[44:45], s[12:13]
	v_mul_f64 v[34:35], v[44:45], s[20:21]
	s_delay_alu instid0(VALU_DEP_2) | instskip(NEXT) | instid1(VALU_DEP_2)
	v_fma_f64 v[220:221], v[26:27], s[20:21], v[32:33]
	v_fma_f64 v[224:225], v[26:27], s[14:15], v[34:35]
	v_mul_f64 v[26:27], v[30:31], s[2:3]
	v_mul_f64 v[30:31], v[30:31], s[22:23]
	s_delay_alu instid0(VALU_DEP_4) | instskip(NEXT) | instid1(VALU_DEP_4)
	v_add_f64 v[200:201], v[12:13], v[220:221]
	v_add_f64 v[202:203], v[218:219], v[224:225]
	s_delay_alu instid0(VALU_DEP_4) | instskip(NEXT) | instid1(VALU_DEP_4)
	v_fma_f64 v[222:223], v[24:25], s[22:23], v[26:27]
	v_fma_f64 v[226:227], v[24:25], s[8:9], v[30:31]
	v_mul_f64 v[24:25], v[28:29], s[2:3]
	v_mul_f64 v[26:27], v[28:29], s[16:17]
	s_delay_alu instid0(VALU_DEP_4) | instskip(NEXT) | instid1(VALU_DEP_4)
	v_add_f64 v[204:205], v[8:9], v[222:223]
	v_add_f64 v[206:207], v[14:15], v[226:227]
	s_delay_alu instid0(VALU_DEP_4) | instskip(NEXT) | instid1(VALU_DEP_4)
	v_fma_f64 v[228:229], v[20:21], s[16:17], v[24:25]
	v_fma_f64 v[230:231], v[20:21], s[8:9], v[26:27]
	s_delay_alu instid0(VALU_DEP_2) | instskip(NEXT) | instid1(VALU_DEP_2)
	v_add_f64 v[212:213], v[10:11], -v[228:229]
	v_add_f64 v[214:215], v[216:217], -v[230:231]
	s_and_saveexec_b32 s1, vcc_lo
	s_cbranch_execz .LBB0_17
; %bb.16:
	v_add_f64 v[24:25], v[12:13], -v[220:221]
	s_clause 0x1
	scratch_load_b32 v12, off, off offset:8
	scratch_load_b32 v13, off, off offset:284
	v_add_f64 v[2:3], v[6:7], v[2:3]
	v_add_f64 v[0:1], v[4:5], v[0:1]
	;; [unrolled: 1-line block ×4, first 2 shown]
	v_add_f64 v[26:27], v[218:219], -v[224:225]
	v_add_f64 v[10:11], v[14:15], -v[226:227]
	;; [unrolled: 1-line block ×3, first 2 shown]
	s_waitcnt vmcnt(0)
	v_add_lshl_u32 v12, v12, v13, 4
	ds_store_b128 v12, v[0:3]
	ds_store_b128 v12, v[4:7] offset:16
	ds_store_b128 v12, v[72:75] offset:32
	;; [unrolled: 1-line block ×9, first 2 shown]
.LBB0_17:
	s_or_b32 exec_lo, exec_lo, s1
	s_waitcnt lgkmcnt(0)
	s_barrier
	buffer_gl0_inv
	scratch_load_b32 v0, off, off           ; 4-byte Folded Reload
	s_waitcnt vmcnt(0)
	ds_load_b128 v[4:7], v0
	ds_load_b128 v[0:3], v18 offset:1920
	ds_load_b128 v[220:223], v18 offset:5120
	ds_load_b128 v[8:11], v18 offset:7040
	ds_load_b128 v[224:227], v18 offset:10240
	ds_load_b128 v[12:15], v18 offset:12160
	ds_load_b128 v[240:243], v18 offset:15360
	ds_load_b128 v[232:235], v18 offset:17280
	ds_load_b128 v[228:231], v18 offset:20480
	ds_load_b128 v[216:219], v18 offset:22400
	ds_load_b128 v[244:247], v18 offset:25600
	ds_load_b128 v[236:239], v18 offset:27520
	s_and_saveexec_b32 s1, s0
	s_cbranch_execz .LBB0_19
; %bb.18:
	ds_load_b128 v[72:75], v18 offset:3840
	ds_load_b128 v[200:203], v18 offset:8960
	;; [unrolled: 1-line block ×6, first 2 shown]
.LBB0_19:
	s_or_b32 exec_lo, exec_lo, s1
	s_waitcnt lgkmcnt(5)
	v_mul_f64 v[24:25], v[70:71], v[242:243]
	scratch_load_b128 v[52:55], off, off offset:232 ; 16-byte Folded Reload
	v_mul_f64 v[20:21], v[70:71], v[240:241]
	s_mov_b32 s2, 0xe8584caa
	s_mov_b32 s3, 0xbfebb67a
	;; [unrolled: 1-line block ×4, first 2 shown]
	v_fma_f64 v[28:29], v[68:69], v[240:241], v[24:25]
	s_waitcnt lgkmcnt(1)
	v_mul_f64 v[24:25], v[94:95], v[244:245]
	s_delay_alu instid0(VALU_DEP_3) | instskip(NEXT) | instid1(VALU_DEP_2)
	v_fma_f64 v[20:21], v[68:69], v[242:243], -v[20:21]
	v_fma_f64 v[30:31], v[92:93], v[246:247], -v[24:25]
	v_mul_f64 v[24:25], v[94:95], v[246:247]
	s_delay_alu instid0(VALU_DEP_1) | instskip(SKIP_1) | instid1(VALU_DEP_1)
	v_fma_f64 v[32:33], v[92:93], v[244:245], v[24:25]
	v_mul_f64 v[24:25], v[86:87], v[232:233]
	v_fma_f64 v[40:41], v[84:85], v[234:235], -v[24:25]
	v_mul_f64 v[24:25], v[86:87], v[234:235]
	s_delay_alu instid0(VALU_DEP_1) | instskip(SKIP_2) | instid1(VALU_DEP_1)
	v_fma_f64 v[42:43], v[84:85], v[232:233], v[24:25]
	s_waitcnt lgkmcnt(0)
	v_mul_f64 v[24:25], v[90:91], v[236:237]
	v_fma_f64 v[44:45], v[88:89], v[238:239], -v[24:25]
	v_mul_f64 v[24:25], v[90:91], v[238:239]
	s_delay_alu instid0(VALU_DEP_1) | instskip(SKIP_1) | instid1(VALU_DEP_1)
	v_fma_f64 v[46:47], v[88:89], v[236:237], v[24:25]
	v_mul_f64 v[24:25], v[82:83], v[226:227]
	v_fma_f64 v[34:35], v[80:81], v[224:225], v[24:25]
	v_mul_f64 v[24:25], v[82:83], v[224:225]
	s_delay_alu instid0(VALU_DEP_1) | instskip(SKIP_1) | instid1(VALU_DEP_1)
	v_fma_f64 v[36:37], v[80:81], v[226:227], -v[24:25]
	v_mul_f64 v[24:25], v[118:119], v[230:231]
	v_fma_f64 v[38:39], v[116:117], v[228:229], v[24:25]
	v_mul_f64 v[24:25], v[118:119], v[228:229]
	s_delay_alu instid0(VALU_DEP_1) | instskip(SKIP_2) | instid1(VALU_DEP_1)
	v_fma_f64 v[48:49], v[116:117], v[230:231], -v[24:25]
	s_waitcnt vmcnt(0)
	v_mul_f64 v[24:25], v[54:55], v[220:221]
	v_fma_f64 v[50:51], v[52:53], v[222:223], -v[24:25]
	v_mul_f64 v[24:25], v[54:55], v[222:223]
	s_delay_alu instid0(VALU_DEP_1) | instskip(SKIP_1) | instid1(VALU_DEP_1)
	v_fma_f64 v[52:53], v[52:53], v[220:221], v[24:25]
	v_mul_f64 v[24:25], v[110:111], v[14:15]
	v_fma_f64 v[54:55], v[108:109], v[12:13], v[24:25]
	scratch_load_b128 v[24:27], off, off offset:248 ; 16-byte Folded Reload
	v_mul_f64 v[12:13], v[110:111], v[12:13]
	s_waitcnt vmcnt(0)
	s_barrier
	buffer_gl0_inv
	v_fma_f64 v[56:57], v[108:109], v[14:15], -v[12:13]
	v_mul_f64 v[12:13], v[114:115], v[218:219]
	s_delay_alu instid0(VALU_DEP_1) | instskip(SKIP_1) | instid1(VALU_DEP_1)
	v_fma_f64 v[58:59], v[112:113], v[216:217], v[12:13]
	v_mul_f64 v[12:13], v[114:115], v[216:217]
	v_fma_f64 v[60:61], v[112:113], v[218:219], -v[12:13]
	v_mul_f64 v[12:13], v[26:27], v[8:9]
	s_delay_alu instid0(VALU_DEP_1) | instskip(SKIP_1) | instid1(VALU_DEP_1)
	v_fma_f64 v[62:63], v[24:25], v[10:11], -v[12:13]
	v_mul_f64 v[10:11], v[26:27], v[10:11]
	v_fma_f64 v[64:65], v[24:25], v[8:9], v[10:11]
	v_add_f64 v[8:9], v[34:35], v[38:39]
	s_delay_alu instid0(VALU_DEP_1) | instskip(SKIP_3) | instid1(VALU_DEP_3)
	v_fma_f64 v[66:67], v[8:9], -0.5, v[4:5]
	v_add_f64 v[8:9], v[36:37], v[48:49]
	v_add_f64 v[4:5], v[4:5], v[34:35]
	v_add_f64 v[34:35], v[34:35], -v[38:39]
	v_fma_f64 v[68:69], v[8:9], -0.5, v[6:7]
	s_delay_alu instid0(VALU_DEP_3) | instskip(SKIP_3) | instid1(VALU_DEP_3)
	v_add_f64 v[8:9], v[4:5], v[38:39]
	v_add_f64 v[4:5], v[52:53], v[28:29]
	;; [unrolled: 1-line block ×3, first 2 shown]
	v_add_f64 v[36:37], v[36:37], -v[48:49]
	v_add_f64 v[12:13], v[4:5], v[32:33]
	v_add_f64 v[4:5], v[50:51], v[20:21]
	s_delay_alu instid0(VALU_DEP_4) | instskip(NEXT) | instid1(VALU_DEP_2)
	v_add_f64 v[10:11], v[6:7], v[48:49]
	v_add_f64 v[14:15], v[4:5], v[30:31]
	s_delay_alu instid0(VALU_DEP_4) | instskip(SKIP_2) | instid1(VALU_DEP_4)
	v_add_f64 v[4:5], v[8:9], v[12:13]
	v_add_f64 v[8:9], v[8:9], -v[12:13]
	v_add_f64 v[12:13], v[54:55], v[58:59]
	v_add_f64 v[6:7], v[10:11], v[14:15]
	v_add_f64 v[10:11], v[10:11], -v[14:15]
	s_delay_alu instid0(VALU_DEP_3) | instskip(SKIP_2) | instid1(VALU_DEP_2)
	v_fma_f64 v[70:71], v[12:13], -0.5, v[0:1]
	v_add_f64 v[12:13], v[56:57], v[60:61]
	v_add_f64 v[0:1], v[0:1], v[54:55]
	v_fma_f64 v[80:81], v[12:13], -0.5, v[2:3]
	v_add_f64 v[12:13], v[64:65], v[42:43]
	v_add_f64 v[2:3], v[2:3], v[56:57]
	s_delay_alu instid0(VALU_DEP_4) | instskip(NEXT) | instid1(VALU_DEP_3)
	v_add_f64 v[0:1], v[0:1], v[58:59]
	v_add_f64 v[24:25], v[12:13], v[46:47]
	;; [unrolled: 1-line block ×3, first 2 shown]
	s_delay_alu instid0(VALU_DEP_4) | instskip(NEXT) | instid1(VALU_DEP_2)
	v_add_f64 v[2:3], v[2:3], v[60:61]
	v_add_f64 v[26:27], v[12:13], v[44:45]
	s_delay_alu instid0(VALU_DEP_4)
	v_add_f64 v[12:13], v[0:1], v[24:25]
	v_add_f64 v[24:25], v[0:1], -v[24:25]
	v_add_f64 v[0:1], v[28:29], v[32:33]
	v_add_f64 v[32:33], v[28:29], -v[32:33]
	;; [unrolled: 2-line block ×4, first 2 shown]
	v_fma_f64 v[38:39], v[0:1], -0.5, v[52:53]
	v_fma_f64 v[52:53], v[34:35], s[8:9], v[68:69]
	s_delay_alu instid0(VALU_DEP_4) | instskip(NEXT) | instid1(VALU_DEP_3)
	v_fma_f64 v[50:51], v[2:3], -0.5, v[50:51]
	v_fma_f64 v[28:29], v[20:21], s[2:3], v[38:39]
	v_fma_f64 v[20:21], v[20:21], s[8:9], v[38:39]
	v_fma_f64 v[38:39], v[34:35], s[2:3], v[68:69]
	s_delay_alu instid0(VALU_DEP_4) | instskip(SKIP_2) | instid1(VALU_DEP_3)
	v_fma_f64 v[0:1], v[32:33], s[8:9], v[50:51]
	v_fma_f64 v[32:33], v[32:33], s[2:3], v[50:51]
	v_add_f64 v[50:51], v[56:57], -v[60:61]
	v_mul_f64 v[2:3], v[0:1], s[2:3]
	v_mul_f64 v[0:1], v[0:1], 0.5
	s_delay_alu instid0(VALU_DEP_4) | instskip(SKIP_1) | instid1(VALU_DEP_4)
	v_mul_f64 v[34:35], v[32:33], s[2:3]
	v_mul_f64 v[32:33], v[32:33], -0.5
	v_fma_f64 v[30:31], v[28:29], 0.5, v[2:3]
	s_delay_alu instid0(VALU_DEP_4) | instskip(SKIP_2) | instid1(VALU_DEP_3)
	v_fma_f64 v[48:49], v[28:29], s[8:9], v[0:1]
	v_fma_f64 v[28:29], v[36:37], s[2:3], v[66:67]
	v_fma_f64 v[36:37], v[36:37], s[8:9], v[66:67]
	v_add_f64 v[2:3], v[52:53], v[48:49]
	s_delay_alu instid0(VALU_DEP_3)
	v_add_f64 v[0:1], v[28:29], v[30:31]
	v_add_f64 v[28:29], v[28:29], -v[30:31]
	v_add_f64 v[30:31], v[52:53], -v[48:49]
	v_fma_f64 v[48:49], v[20:21], -0.5, v[34:35]
	v_fma_f64 v[20:21], v[20:21], s[8:9], v[32:33]
	v_add_f64 v[52:53], v[54:55], -v[58:59]
	v_fma_f64 v[58:59], v[50:51], s[2:3], v[70:71]
	s_delay_alu instid0(VALU_DEP_4) | instskip(NEXT) | instid1(VALU_DEP_4)
	v_add_f64 v[32:33], v[36:37], v[48:49]
	v_add_f64 v[34:35], v[38:39], v[20:21]
	v_add_f64 v[38:39], v[38:39], -v[20:21]
	v_add_f64 v[20:21], v[42:43], v[46:47]
	v_add_f64 v[46:47], v[42:43], -v[46:47]
	;; [unrolled: 2-line block ×3, first 2 shown]
	v_add_f64 v[44:45], v[40:41], -v[44:45]
	v_fma_f64 v[20:21], v[20:21], -0.5, v[64:65]
	s_delay_alu instid0(VALU_DEP_4) | instskip(SKIP_1) | instid1(VALU_DEP_3)
	v_fma_f64 v[48:49], v[42:43], -0.5, v[62:63]
	v_fma_f64 v[62:63], v[52:53], s[8:9], v[80:81]
	v_fma_f64 v[54:55], v[44:45], s[2:3], v[20:21]
	;; [unrolled: 1-line block ×3, first 2 shown]
	s_delay_alu instid0(VALU_DEP_4) | instskip(SKIP_3) | instid1(VALU_DEP_4)
	v_fma_f64 v[40:41], v[46:47], s[8:9], v[48:49]
	v_fma_f64 v[46:47], v[46:47], s[2:3], v[48:49]
	v_fma_f64 v[44:45], v[50:51], s[8:9], v[70:71]
	v_fma_f64 v[48:49], v[52:53], s[2:3], v[80:81]
	v_mul_f64 v[42:43], v[40:41], s[2:3]
	s_delay_alu instid0(VALU_DEP_4) | instskip(SKIP_2) | instid1(VALU_DEP_4)
	v_mul_f64 v[50:51], v[46:47], s[2:3]
	v_mul_f64 v[46:47], v[46:47], -0.5
	v_mul_f64 v[40:41], v[40:41], 0.5
	v_fma_f64 v[56:57], v[54:55], 0.5, v[42:43]
	s_delay_alu instid0(VALU_DEP_4) | instskip(NEXT) | instid1(VALU_DEP_4)
	v_fma_f64 v[50:51], v[20:21], -0.5, v[50:51]
	v_fma_f64 v[20:21], v[20:21], s[8:9], v[46:47]
	s_delay_alu instid0(VALU_DEP_4) | instskip(NEXT) | instid1(VALU_DEP_4)
	v_fma_f64 v[54:55], v[54:55], s[8:9], v[40:41]
	v_add_f64 v[40:41], v[58:59], v[56:57]
	s_delay_alu instid0(VALU_DEP_4) | instskip(NEXT) | instid1(VALU_DEP_4)
	v_add_f64 v[64:65], v[44:45], v[50:51]
	v_add_f64 v[66:67], v[48:49], v[20:21]
	v_add_f64 v[70:71], v[48:49], -v[20:21]
	scratch_load_b32 v20, off, off offset:280 ; 4-byte Folded Reload
	v_add_f64 v[42:43], v[62:63], v[54:55]
	v_add_f64 v[60:61], v[58:59], -v[56:57]
	v_add_f64 v[62:63], v[62:63], -v[54:55]
	;; [unrolled: 1-line block ×3, first 2 shown]
	s_waitcnt vmcnt(0)
	ds_store_b128 v20, v[4:7]
	ds_store_b128 v20, v[8:11] offset:480
	ds_store_b128 v20, v[0:3] offset:160
	;; [unrolled: 1-line block ×3, first 2 shown]
	v_add_nc_u32_e32 v0, 0x1e00, v18
	v_add_nc_u32_e32 v1, 0x2d00, v18
	;; [unrolled: 1-line block ×3, first 2 shown]
	ds_store_b128 v20, v[28:31] offset:640
	ds_store_b128 v20, v[36:39] offset:800
	ds_store_b128 v19, v[12:15]
	ds_store_b128 v19, v[40:43] offset:160
	ds_store_b128 v19, v[64:67] offset:320
	ds_store_b128 v19, v[24:27] offset:480
	ds_store_b128 v19, v[60:63] offset:640
	ds_store_b128 v19, v[68:71] offset:800
	s_and_saveexec_b32 s1, s0
	s_cbranch_execz .LBB0_21
; %bb.20:
	s_clause 0x3
	scratch_load_b128 v[28:31], off, off offset:288
	scratch_load_b32 v15, off, off offset:264
	scratch_load_b128 v[34:37], off, off offset:320
	scratch_load_b128 v[40:43], off, off offset:352
	s_waitcnt vmcnt(3)
	v_mul_f64 v[3:4], v[30:31], v[208:209]
	v_mul_f64 v[7:8], v[30:31], v[210:211]
	scratch_load_b128 v[30:33], off, off offset:304 ; 16-byte Folded Reload
	s_waitcnt vmcnt(2)
	v_mul_f64 v[5:6], v[36:37], v[76:77]
	v_mul_f64 v[9:10], v[36:37], v[78:79]
	scratch_load_b128 v[36:39], off, off offset:336 ; 16-byte Folded Reload
	s_waitcnt vmcnt(2)
	v_mul_f64 v[19:20], v[42:43], v[212:213]
	v_mul_f64 v[24:25], v[42:43], v[214:215]
	v_fma_f64 v[3:4], v[28:29], v[210:211], -v[3:4]
	v_fma_f64 v[7:8], v[28:29], v[208:209], v[7:8]
	v_fma_f64 v[5:6], v[34:35], v[78:79], -v[5:6]
	v_fma_f64 v[9:10], v[34:35], v[76:77], v[9:10]
	v_fma_f64 v[19:20], v[40:41], v[214:215], -v[19:20]
	v_fma_f64 v[24:25], v[40:41], v[212:213], v[24:25]
	s_delay_alu instid0(VALU_DEP_4)
	v_add_f64 v[28:29], v[3:4], v[5:6]
	s_waitcnt vmcnt(1)
	v_mul_f64 v[11:12], v[32:33], v[200:201]
	v_mul_f64 v[26:27], v[32:33], v[202:203]
	v_add_f64 v[32:33], v[7:8], -v[9:10]
	s_waitcnt vmcnt(0)
	v_mul_f64 v[13:14], v[38:39], v[204:205]
	v_mul_f64 v[21:22], v[38:39], v[206:207]
	v_fma_f64 v[11:12], v[30:31], v[202:203], -v[11:12]
	v_fma_f64 v[26:27], v[30:31], v[200:201], v[26:27]
	v_add_f64 v[30:31], v[7:8], v[9:10]
	v_fma_f64 v[13:14], v[36:37], v[206:207], -v[13:14]
	v_fma_f64 v[21:22], v[36:37], v[204:205], v[21:22]
	v_add_f64 v[36:37], v[3:4], -v[5:6]
	v_add_f64 v[3:4], v[3:4], v[11:12]
	v_fma_f64 v[28:29], v[28:29], -0.5, v[11:12]
	v_add_f64 v[7:8], v[7:8], v[26:27]
	v_add_f64 v[42:43], v[13:14], v[74:75]
	;; [unrolled: 1-line block ×3, first 2 shown]
	v_add_f64 v[11:12], v[13:14], -v[19:20]
	v_add_f64 v[38:39], v[24:25], v[21:22]
	v_fma_f64 v[30:31], v[30:31], -0.5, v[26:27]
	v_add_f64 v[13:14], v[21:22], v[72:73]
	v_fma_f64 v[40:41], v[32:33], s[2:3], v[28:29]
	v_add_f64 v[7:8], v[9:10], v[7:8]
	v_add_f64 v[19:20], v[19:20], v[42:43]
	;; [unrolled: 1-line block ×3, first 2 shown]
	v_fma_f64 v[28:29], v[32:33], s[8:9], v[28:29]
	v_add_f64 v[32:33], v[21:22], -v[24:25]
	v_fma_f64 v[21:22], v[34:35], -0.5, v[74:75]
	v_fma_f64 v[26:27], v[38:39], -0.5, v[72:73]
	v_fma_f64 v[34:35], v[36:37], s[8:9], v[30:31]
	v_fma_f64 v[30:31], v[36:37], s[2:3], v[30:31]
	v_add_f64 v[13:14], v[24:25], v[13:14]
	v_mul_f64 v[38:39], v[40:41], -0.5
	v_mul_f64 v[40:41], v[40:41], s[2:3]
	v_add_f64 v[5:6], v[19:20], -v[42:43]
	v_add_f64 v[9:10], v[19:20], v[42:43]
	scratch_load_b32 v19, off, off offset:8 ; 4-byte Folded Reload
	v_mul_f64 v[36:37], v[28:29], 0.5
	v_mul_f64 v[28:29], v[28:29], s[2:3]
	v_fma_f64 v[24:25], v[32:33], s[2:3], v[21:22]
	v_fma_f64 v[21:22], v[32:33], s[8:9], v[21:22]
	;; [unrolled: 1-line block ×4, first 2 shown]
	v_add_f64 v[3:4], v[13:14], -v[7:8]
	v_add_f64 v[7:8], v[13:14], v[7:8]
	v_and_b32_e32 v15, 0xffff, v15
	v_fma_f64 v[32:33], v[34:35], s[8:9], v[38:39]
	v_fma_f64 v[40:41], v[34:35], -0.5, v[40:41]
	v_fma_f64 v[36:37], v[30:31], s[8:9], v[36:37]
	v_fma_f64 v[38:39], v[30:31], 0.5, v[28:29]
	s_delay_alu instid0(VALU_DEP_4)
	v_add_f64 v[13:14], v[24:25], -v[32:33]
	v_add_f64 v[26:27], v[24:25], v[32:33]
	v_add_f64 v[24:25], v[44:45], v[40:41]
	;; [unrolled: 1-line block ×4, first 2 shown]
	v_add_f64 v[34:35], v[21:22], -v[36:37]
	v_add_f64 v[32:33], v[11:12], -v[38:39]
	;; [unrolled: 1-line block ×3, first 2 shown]
	s_waitcnt vmcnt(0)
	v_add_lshl_u32 v15, v19, v15, 4
	ds_store_b128 v15, v[7:10]
	ds_store_b128 v15, v[28:31] offset:160
	ds_store_b128 v15, v[24:27] offset:320
	;; [unrolled: 1-line block ×5, first 2 shown]
.LBB0_21:
	s_or_b32 exec_lo, exec_lo, s1
	s_waitcnt lgkmcnt(0)
	s_barrier
	buffer_gl0_inv
	ds_load_b128 v[3:6], v18 offset:1920
	ds_load_b128 v[7:10], v18 offset:3840
	;; [unrolled: 1-line block ×15, first 2 shown]
	s_mov_b32 s0, 0x667f3bcd
	s_mov_b32 s1, 0xbfe6a09e
	s_mov_b32 s3, 0x3fe6a09e
	s_mov_b32 s2, s0
	s_mov_b32 s8, 0xcf328d46
	s_mov_b32 s9, 0xbfed906b
	s_mov_b32 s17, 0x3fed906b
	s_mov_b32 s16, s8
	s_mov_b32 s12, 0xa6aea964
	s_mov_b32 s13, 0x3fd87de2
	s_mov_b32 s15, 0xbfd87de2
	s_mov_b32 s14, s12
	s_waitcnt lgkmcnt(6)
	v_mul_f64 v[108:109], v[154:155], v[44:45]
	s_waitcnt lgkmcnt(5)
	v_mul_f64 v[110:111], v[146:147], v[50:51]
	v_mul_f64 v[19:20], v[106:107], v[5:6]
	;; [unrolled: 1-line block ×19, first 2 shown]
	s_waitcnt lgkmcnt(3)
	v_mul_f64 v[114:115], v[142:143], v[58:59]
	v_mul_f64 v[116:117], v[142:143], v[56:57]
	s_waitcnt lgkmcnt(1)
	v_mul_f64 v[118:119], v[150:151], v[66:67]
	v_mul_f64 v[122:123], v[158:159], v[60:61]
	v_fma_f64 v[46:47], v[152:153], v[46:47], -v[108:109]
	v_fma_f64 v[48:49], v[144:145], v[48:49], v[110:111]
	v_fma_f64 v[19:20], v[104:105], v[3:4], v[19:20]
	;; [unrolled: 1-line block ×3, first 2 shown]
	v_fma_f64 v[9:10], v[100:101], v[9:10], -v[74:75]
	s_waitcnt lgkmcnt(0)
	v_mul_f64 v[100:101], v[166:167], v[70:71]
	v_mul_f64 v[74:75], v[166:167], v[68:69]
	v_fma_f64 v[21:22], v[104:105], v[5:6], -v[21:22]
	v_mul_f64 v[3:4], v[150:151], v[64:65]
	v_mul_f64 v[5:6], v[162:163], v[54:55]
	;; [unrolled: 1-line block ×4, first 2 shown]
	v_fma_f64 v[11:12], v[96:97], v[11:12], v[76:77]
	v_fma_f64 v[13:14], v[96:97], v[13:14], -v[78:79]
	v_fma_f64 v[24:25], v[120:121], v[24:25], v[80:81]
	v_fma_f64 v[26:27], v[120:121], v[26:27], -v[82:83]
	;; [unrolled: 2-line block ×7, first 2 shown]
	v_fma_f64 v[50:51], v[144:145], v[50:51], -v[112:113]
	v_fma_f64 v[64:65], v[148:149], v[64:65], v[118:119]
	v_fma_f64 v[44:45], v[152:153], v[44:45], v[106:107]
	v_fma_f64 v[62:63], v[156:157], v[62:63], -v[122:123]
	v_add_f64 v[48:49], v[7:8], -v[48:49]
	v_fma_f64 v[68:69], v[164:165], v[68:69], v[100:101]
	scratch_load_b32 v100, off, off         ; 4-byte Folded Reload
	v_fma_f64 v[70:71], v[164:165], v[70:71], -v[74:75]
	v_fma_f64 v[66:67], v[148:149], v[66:67], -v[3:4]
	v_fma_f64 v[52:53], v[160:161], v[52:53], v[5:6]
	v_fma_f64 v[60:61], v[156:157], v[60:61], v[104:105]
	v_fma_f64 v[54:55], v[160:161], v[54:55], -v[72:73]
	v_add_f64 v[46:47], v[21:22], -v[46:47]
	v_add_f64 v[56:57], v[24:25], -v[56:57]
	;; [unrolled: 1-line block ×7, first 2 shown]
	v_fma_f64 v[7:8], v[7:8], 2.0, -v[48:49]
	v_add_f64 v[68:69], v[36:37], -v[68:69]
	v_add_f64 v[70:71], v[38:39], -v[70:71]
	;; [unrolled: 1-line block ×6, first 2 shown]
	v_fma_f64 v[21:22], v[21:22], 2.0, -v[46:47]
	v_fma_f64 v[24:25], v[24:25], 2.0, -v[56:57]
	;; [unrolled: 1-line block ×4, first 2 shown]
	v_add_f64 v[78:79], v[50:51], -v[64:65]
	v_fma_f64 v[32:33], v[32:33], 2.0, -v[64:65]
	v_add_f64 v[80:81], v[44:45], v[62:63]
	v_fma_f64 v[19:20], v[19:20], 2.0, -v[44:45]
	v_fma_f64 v[30:31], v[30:31], 2.0, -v[62:63]
	;; [unrolled: 1-line block ×4, first 2 shown]
	v_add_f64 v[76:77], v[48:49], v[66:67]
	v_add_f64 v[84:85], v[52:53], v[70:71]
	v_add_f64 v[82:83], v[46:47], -v[60:61]
	v_add_f64 v[86:87], v[54:55], -v[68:69]
	v_fma_f64 v[34:35], v[34:35], 2.0, -v[66:67]
	v_fma_f64 v[28:29], v[28:29], 2.0, -v[60:61]
	;; [unrolled: 1-line block ×5, first 2 shown]
	v_add_f64 v[32:33], v[7:8], -v[32:33]
	v_fma_f64 v[44:45], v[44:45], 2.0, -v[80:81]
	v_add_f64 v[30:31], v[21:22], -v[30:31]
	v_fma_f64 v[48:49], v[48:49], 2.0, -v[76:77]
	v_fma_f64 v[52:53], v[52:53], 2.0, -v[84:85]
	;; [unrolled: 1-line block ×4, first 2 shown]
	v_add_f64 v[34:35], v[9:10], -v[34:35]
	v_add_f64 v[28:29], v[19:20], -v[28:29]
	;; [unrolled: 1-line block ×4, first 2 shown]
	v_fma_f64 v[60:61], v[84:85], s[2:3], v[80:81]
	v_fma_f64 v[62:63], v[86:87], s[2:3], v[82:83]
	v_fma_f64 v[7:8], v[7:8], 2.0, -v[32:33]
	v_fma_f64 v[21:22], v[21:22], 2.0, -v[30:31]
	v_fma_f64 v[68:69], v[52:53], s[0:1], v[44:45]
	v_fma_f64 v[70:71], v[54:55], s[0:1], v[46:47]
	v_fma_f64 v[9:10], v[9:10], 2.0, -v[34:35]
	v_fma_f64 v[19:20], v[19:20], 2.0, -v[28:29]
	;; [unrolled: 1-line block ×4, first 2 shown]
	v_fma_f64 v[60:61], v[86:87], s[2:3], v[60:61]
	v_fma_f64 v[62:63], v[84:85], s[0:1], v[62:63]
	s_waitcnt vmcnt(0)
	ds_load_b128 v[3:6], v100
	s_waitcnt lgkmcnt(0)
	s_barrier
	buffer_gl0_inv
	v_add_f64 v[40:41], v[3:4], -v[40:41]
	v_add_f64 v[42:43], v[5:6], -v[42:43]
	s_delay_alu instid0(VALU_DEP_2) | instskip(NEXT) | instid1(VALU_DEP_2)
	v_add_f64 v[72:73], v[40:41], v[58:59]
	v_add_f64 v[74:75], v[42:43], -v[56:57]
	v_fma_f64 v[3:4], v[3:4], 2.0, -v[40:41]
	v_fma_f64 v[5:6], v[5:6], 2.0, -v[42:43]
	s_delay_alu instid0(VALU_DEP_4) | instskip(NEXT) | instid1(VALU_DEP_4)
	v_fma_f64 v[40:41], v[40:41], 2.0, -v[72:73]
	v_fma_f64 v[42:43], v[42:43], 2.0, -v[74:75]
	s_delay_alu instid0(VALU_DEP_4) | instskip(NEXT) | instid1(VALU_DEP_4)
	v_add_f64 v[24:25], v[3:4], -v[24:25]
	v_add_f64 v[26:27], v[5:6], -v[26:27]
	v_fma_f64 v[56:57], v[76:77], s[2:3], v[72:73]
	v_fma_f64 v[58:59], v[78:79], s[2:3], v[74:75]
	;; [unrolled: 1-line block ×4, first 2 shown]
	v_add_f64 v[88:89], v[24:25], v[34:35]
	v_add_f64 v[90:91], v[26:27], -v[32:33]
	v_add_f64 v[32:33], v[28:29], v[38:39]
	v_add_f64 v[34:35], v[30:31], -v[36:37]
	v_fma_f64 v[56:57], v[78:79], s[2:3], v[56:57]
	v_fma_f64 v[58:59], v[76:77], s[0:1], v[58:59]
	v_fma_f64 v[3:4], v[3:4], 2.0, -v[24:25]
	v_fma_f64 v[5:6], v[5:6], 2.0, -v[26:27]
	v_fma_f64 v[36:37], v[54:55], s[2:3], v[68:69]
	v_fma_f64 v[38:39], v[52:53], s[0:1], v[70:71]
	;; [unrolled: 1-line block ×4, first 2 shown]
	v_fma_f64 v[68:69], v[24:25], 2.0, -v[88:89]
	v_fma_f64 v[70:71], v[26:27], 2.0, -v[90:91]
	;; [unrolled: 1-line block ×8, first 2 shown]
	v_add_f64 v[52:53], v[3:4], -v[7:8]
	v_add_f64 v[54:55], v[5:6], -v[9:10]
	;; [unrolled: 1-line block ×4, first 2 shown]
	v_fma_f64 v[7:8], v[32:33], s[2:3], v[88:89]
	v_fma_f64 v[9:10], v[34:35], s[2:3], v[90:91]
	;; [unrolled: 1-line block ×3, first 2 shown]
	v_fma_f64 v[76:77], v[40:41], 2.0, -v[64:65]
	v_fma_f64 v[78:79], v[42:43], 2.0, -v[66:67]
	;; [unrolled: 1-line block ×4, first 2 shown]
	v_fma_f64 v[44:45], v[62:63], s[16:17], v[58:59]
	v_fma_f64 v[46:47], v[26:27], s[0:1], v[68:69]
	;; [unrolled: 1-line block ×7, first 2 shown]
	v_fma_f64 v[80:81], v[3:4], 2.0, -v[52:53]
	v_fma_f64 v[82:83], v[5:6], 2.0, -v[54:55]
	;; [unrolled: 1-line block ×4, first 2 shown]
	v_fma_f64 v[3:4], v[34:35], s[2:3], v[7:8]
	v_fma_f64 v[5:6], v[32:33], s[0:1], v[9:10]
	;; [unrolled: 1-line block ×3, first 2 shown]
	v_add_f64 v[11:12], v[52:53], v[11:12]
	v_add_f64 v[13:14], v[54:55], -v[48:49]
	v_fma_f64 v[96:97], v[42:43], s[8:9], v[76:77]
	v_fma_f64 v[98:99], v[40:41], s[8:9], v[78:79]
	;; [unrolled: 1-line block ×9, first 2 shown]
	s_mul_i32 s1, s5, 0xc0
	s_mul_i32 s0, s4, 0xc0
	v_add_f64 v[36:37], v[80:81], -v[19:20]
	v_add_f64 v[38:39], v[82:83], -v[21:22]
	v_fma_f64 v[44:45], v[88:89], 2.0, -v[3:4]
	v_fma_f64 v[46:47], v[90:91], 2.0, -v[5:6]
	;; [unrolled: 1-line block ×5, first 2 shown]
	s_mul_hi_u32 s9, s4, 0x1800
	s_mov_b32 s2, 0x11111111
	s_mov_b32 s3, 0x3f411111
	s_mul_i32 s8, s4, 0x1800
	v_fma_f64 v[40:41], v[40:41], s[12:13], v[96:97]
	v_fma_f64 v[42:43], v[42:43], s[14:15], v[98:99]
	v_fma_f64 v[50:51], v[58:59], 2.0, -v[9:10]
	v_fma_f64 v[56:57], v[68:69], 2.0, -v[24:25]
	;; [unrolled: 1-line block ×7, first 2 shown]
	s_mul_hi_u32 s12, s4, 0xc0
	v_fma_f64 v[68:69], v[80:81], 2.0, -v[36:37]
	v_fma_f64 v[70:71], v[82:83], 2.0, -v[38:39]
	s_add_i32 s1, s12, s1
	v_fma_f64 v[72:73], v[76:77], 2.0, -v[40:41]
	v_fma_f64 v[74:75], v[78:79], 2.0, -v[42:43]
	ds_store_b128 v23, v[3:6] offset:13440
	ds_store_b128 v23, v[7:10] offset:14400
	;; [unrolled: 1-line block ×14, first 2 shown]
	ds_store_b128 v23, v[68:71]
	ds_store_b128 v23, v[72:75] offset:960
	s_waitcnt lgkmcnt(0)
	s_barrier
	buffer_gl0_inv
	ds_load_b128 v[3:6], v18 offset:15360
	ds_load_b128 v[7:10], v18 offset:17280
	;; [unrolled: 1-line block ×8, first 2 shown]
	s_waitcnt lgkmcnt(7)
	v_mul_f64 v[40:41], v[170:171], v[5:6]
	v_mul_f64 v[42:43], v[170:171], v[3:4]
	s_waitcnt lgkmcnt(6)
	v_mul_f64 v[44:45], v[174:175], v[9:10]
	v_mul_f64 v[46:47], v[174:175], v[7:8]
	;; [unrolled: 3-line block ×8, first 2 shown]
	v_fma_f64 v[40:41], v[168:169], v[3:4], v[40:41]
	v_fma_f64 v[42:43], v[168:169], v[5:6], -v[42:43]
	v_fma_f64 v[44:45], v[172:173], v[7:8], v[44:45]
	v_fma_f64 v[46:47], v[172:173], v[9:10], -v[46:47]
	;; [unrolled: 2-line block ×8, first 2 shown]
	ds_load_b128 v[3:6], v100
	ds_load_b128 v[7:10], v18 offset:1920
	ds_load_b128 v[11:14], v18 offset:3840
	;; [unrolled: 1-line block ×7, first 2 shown]
	s_clause 0x5
	scratch_load_b64 v[72:73], off, off offset:20
	scratch_load_b32 v86, off, off offset:44
	scratch_load_b32 v106, off, off offset:56
	;; [unrolled: 1-line block ×5, first 2 shown]
	s_waitcnt lgkmcnt(7)
	v_add_f64 v[40:41], v[3:4], -v[40:41]
	v_add_f64 v[42:43], v[5:6], -v[42:43]
	s_waitcnt lgkmcnt(6)
	v_add_f64 v[44:45], v[7:8], -v[44:45]
	v_add_f64 v[46:47], v[9:10], -v[46:47]
	;; [unrolled: 3-line block ×8, first 2 shown]
	v_fma_f64 v[3:4], v[3:4], 2.0, -v[40:41]
	v_fma_f64 v[5:6], v[5:6], 2.0, -v[42:43]
	;; [unrolled: 1-line block ×16, first 2 shown]
	ds_store_b128 v100, v[3:6]
	ds_store_b128 v18, v[7:10] offset:1920
	ds_store_b128 v18, v[11:14] offset:3840
	;; [unrolled: 1-line block ×15, first 2 shown]
	s_waitcnt vmcnt(0) lgkmcnt(0)
	s_barrier
	buffer_gl0_inv
	ds_load_b128 v[0:3], v100
	ds_load_b128 v[12:15], v18 offset:9216
	ds_load_b128 v[4:7], v18 offset:3072
	ds_load_b128 v[8:11], v18 offset:6144
	ds_load_b128 v[20:23], v18 offset:12288
	ds_load_b128 v[24:27], v18 offset:15360
	ds_load_b128 v[28:31], v18 offset:18432
	ds_load_b128 v[32:35], v18 offset:21504
	ds_load_b128 v[36:39], v18 offset:24576
	ds_load_b128 v[40:43], v18 offset:27648
	s_clause 0x6
	scratch_load_b128 v[124:127], off, off offset:128
	scratch_load_b128 v[131:134], off, off offset:164
	;; [unrolled: 1-line block ×7, first 2 shown]
	v_mov_b32_e32 v84, v72
	v_mad_u64_u32 v[76:77], null, s4, v86, 0
	v_mad_u64_u32 v[78:79], null, s4, v106, 0
	s_delay_alu instid0(VALU_DEP_3) | instskip(SKIP_2) | instid1(VALU_DEP_4)
	v_mad_u64_u32 v[72:73], null, s6, v84, 0
	v_mad_u64_u32 v[74:75], null, s4, v85, 0
	;; [unrolled: 1-line block ×3, first 2 shown]
	v_dual_mov_b32 v44, v77 :: v_dual_mov_b32 v45, v79
	s_delay_alu instid0(VALU_DEP_4) | instskip(SKIP_1) | instid1(VALU_DEP_4)
	v_mov_b32_e32 v19, v73
	v_mad_u64_u32 v[82:83], null, s4, v130, 0
	v_dual_mov_b32 v73, v75 :: v_dual_mov_b32 v46, v81
	s_waitcnt lgkmcnt(5)
	s_delay_alu instid0(VALU_DEP_3) | instskip(SKIP_1) | instid1(VALU_DEP_2)
	v_mad_u64_u32 v[48:49], null, s7, v84, v[19:20]
	s_mul_i32 s6, s5, 0x1800
	v_mad_u64_u32 v[49:50], null, s5, v85, v[73:74]
	v_mad_u64_u32 v[50:51], null, s5, v86, v[44:45]
	v_mov_b32_e32 v47, v83
	v_mad_u64_u32 v[104:105], null, s5, v106, v[45:46]
	v_mov_b32_e32 v73, v48
	v_mov_b32_e32 v75, v49
	s_delay_alu instid0(VALU_DEP_4)
	v_mad_u64_u32 v[44:45], null, s5, v123, v[46:47]
	v_mad_u64_u32 v[45:46], null, s5, v130, v[47:48]
	v_mov_b32_e32 v77, v50
	v_mov_b32_e32 v79, v104
	v_lshlrev_b64 v[46:47], 4, v[74:75]
	s_add_i32 s9, s9, s6
	v_mov_b32_e32 v81, v44
	v_lshlrev_b64 v[48:49], 4, v[76:77]
	v_mov_b32_e32 v83, v45
	v_lshlrev_b64 v[44:45], 4, v[72:73]
	v_lshlrev_b64 v[71:72], 4, v[78:79]
	s_lshl_b64 s[6:7], s[0:1], 4
	v_lshlrev_b64 v[79:80], 4, v[80:81]
	v_lshlrev_b64 v[81:82], 4, v[82:83]
	s_waitcnt vmcnt(6)
	v_mul_f64 v[67:68], v[126:127], v[22:23]
	v_mul_f64 v[69:70], v[126:127], v[20:21]
	scratch_load_b128 v[126:129], off, off offset:144 ; 16-byte Folded Reload
	s_waitcnt vmcnt(5) lgkmcnt(4)
	v_mul_f64 v[84:85], v[137:138], v[26:27]
	v_mul_f64 v[86:87], v[137:138], v[24:25]
	scratch_load_b128 v[137:140], off, off offset:196 ; 16-byte Folded Reload
	s_waitcnt vmcnt(5)
	v_mul_f64 v[51:52], v[121:122], v[2:3]
	v_mul_f64 v[53:54], v[121:122], v[0:1]
	s_waitcnt vmcnt(4)
	v_mul_f64 v[55:56], v[117:118], v[6:7]
	v_mul_f64 v[57:58], v[117:118], v[4:5]
	;; [unrolled: 3-line block ×4, first 2 shown]
	s_waitcnt lgkmcnt(2)
	v_mul_f64 v[92:93], v[133:134], v[34:35]
	v_mul_f64 v[94:95], v[133:134], v[32:33]
	v_fma_f64 v[0:1], v[119:120], v[0:1], v[51:52]
	v_fma_f64 v[50:51], v[119:120], v[2:3], -v[53:54]
	v_fma_f64 v[52:53], v[115:116], v[4:5], v[55:56]
	v_fma_f64 v[54:55], v[115:116], v[6:7], -v[57:58]
	v_fma_f64 v[56:57], v[111:112], v[8:9], v[59:60]
	v_fma_f64 v[58:59], v[111:112], v[10:11], -v[61:62]
	v_fma_f64 v[60:61], v[107:108], v[12:13], v[63:64]
	v_fma_f64 v[14:15], v[107:108], v[14:15], -v[65:66]
	v_fma_f64 v[62:63], v[124:125], v[20:21], v[67:68]
	v_fma_f64 v[64:65], v[124:125], v[22:23], -v[69:70]
	v_fma_f64 v[66:67], v[135:136], v[24:25], v[84:85]
	v_fma_f64 v[68:69], v[135:136], v[26:27], -v[86:87]
	v_fma_f64 v[77:78], v[131:132], v[32:33], v[92:93]
	v_fma_f64 v[84:85], v[131:132], v[34:35], -v[94:95]
	v_add_co_u32 v70, s0, s10, v44
	v_mul_f64 v[2:3], v[0:1], s[2:3]
	v_mul_f64 v[4:5], v[50:51], s[2:3]
	;; [unrolled: 1-line block ×10, first 2 shown]
	s_waitcnt vmcnt(1)
	v_mul_f64 v[88:89], v[128:129], v[30:31]
	v_mul_f64 v[90:91], v[128:129], v[28:29]
	s_waitcnt vmcnt(0) lgkmcnt(1)
	v_mul_f64 v[96:97], v[139:140], v[38:39]
	v_mul_f64 v[98:99], v[139:140], v[36:37]
	scratch_load_b128 v[139:142], off, off offset:212 ; 16-byte Folded Reload
	v_fma_f64 v[73:74], v[126:127], v[28:29], v[88:89]
	v_fma_f64 v[75:76], v[126:127], v[30:31], -v[90:91]
	v_mul_f64 v[27:28], v[66:67], s[2:3]
	v_fma_f64 v[86:87], v[137:138], v[36:37], v[96:97]
	v_fma_f64 v[88:89], v[137:138], v[38:39], -v[98:99]
	v_add_co_ci_u32_e64 v98, s0, s11, v45, s0
	v_add_co_u32 v94, s0, v70, v46
	v_mul_f64 v[29:30], v[68:69], s[2:3]
	s_delay_alu instid0(VALU_DEP_3) | instskip(SKIP_1) | instid1(VALU_DEP_1)
	v_add_co_ci_u32_e64 v95, s0, v98, v47, s0
	v_add_co_u32 v47, s0, v70, v48
	v_add_co_ci_u32_e64 v48, s0, v98, v49, s0
	v_mul_f64 v[35:36], v[77:78], s[2:3]
	v_mul_f64 v[37:38], v[84:85], s[2:3]
	v_add_co_u32 v96, s0, v94, s6
	s_delay_alu instid0(VALU_DEP_1) | instskip(NEXT) | instid1(VALU_DEP_2)
	v_add_co_ci_u32_e64 v97, s0, s7, v95, s0
	v_add_co_u32 v14, s0, v96, s8
	s_delay_alu instid0(VALU_DEP_1) | instskip(SKIP_1) | instid1(VALU_DEP_1)
	v_add_co_ci_u32_e64 v15, s0, s9, v97, s0
	v_add_co_u32 v49, s0, v70, v71
	v_add_co_ci_u32_e64 v50, s0, v98, v72, s0
	s_delay_alu instid0(VALU_DEP_4) | instskip(NEXT) | instid1(VALU_DEP_1)
	v_add_co_u32 v51, s0, v14, s8
	v_add_co_ci_u32_e64 v52, s0, s9, v15, s0
	v_add_co_u32 v53, s0, v70, v79
	s_delay_alu instid0(VALU_DEP_1) | instskip(SKIP_3) | instid1(VALU_DEP_1)
	v_add_co_ci_u32_e64 v54, s0, v98, v80, s0
	v_mul_f64 v[31:32], v[73:74], s[2:3]
	v_mul_f64 v[33:34], v[75:76], s[2:3]
	v_add_co_u32 v55, s0, v51, s8
	v_add_co_ci_u32_e64 v56, s0, s9, v52, s0
	v_add_co_u32 v57, s0, v70, v81
	s_delay_alu instid0(VALU_DEP_1) | instskip(NEXT) | instid1(VALU_DEP_4)
	v_add_co_ci_u32_e64 v58, s0, v98, v82, s0
	v_add_co_u32 v0, s0, v55, s8
	s_delay_alu instid0(VALU_DEP_1) | instskip(SKIP_3) | instid1(VALU_DEP_2)
	v_add_co_ci_u32_e64 v1, s0, s9, v56, s0
	s_waitcnt vmcnt(0) lgkmcnt(0)
	v_mul_f64 v[100:101], v[141:142], v[42:43]
	v_mul_f64 v[102:103], v[141:142], v[40:41]
	v_fma_f64 v[90:91], v[139:140], v[40:41], v[100:101]
	s_delay_alu instid0(VALU_DEP_2) | instskip(SKIP_2) | instid1(VALU_DEP_4)
	v_fma_f64 v[92:93], v[139:140], v[42:43], -v[102:103]
	v_mul_f64 v[39:40], v[86:87], s[2:3]
	v_mul_f64 v[41:42], v[88:89], s[2:3]
	;; [unrolled: 1-line block ×3, first 2 shown]
	s_delay_alu instid0(VALU_DEP_4)
	v_mul_f64 v[45:46], v[92:93], s[2:3]
	s_clause 0x8
	global_store_b128 v[94:95], v[2:5], off
	global_store_b128 v[96:97], v[6:9], off
	;; [unrolled: 1-line block ×10, first 2 shown]
	s_and_b32 exec_lo, exec_lo, vcc_lo
	s_cbranch_execz .LBB0_23
; %bb.22:
	global_load_b128 v[2:5], v[16:17], off offset:1920
	ds_load_b128 v[6:9], v18 offset:1920
	ds_load_b128 v[10:13], v18 offset:4992
	s_mul_i32 s0, s5, 0xffff9b80
	s_delay_alu instid0(SALU_CYCLE_1) | instskip(SKIP_3) | instid1(VALU_DEP_2)
	s_sub_i32 s0, s0, s4
	s_waitcnt vmcnt(0) lgkmcnt(1)
	v_mul_f64 v[14:15], v[8:9], v[4:5]
	v_mul_f64 v[4:5], v[6:7], v[4:5]
	v_fma_f64 v[6:7], v[6:7], v[2:3], v[14:15]
	s_delay_alu instid0(VALU_DEP_2) | instskip(SKIP_2) | instid1(VALU_DEP_4)
	v_fma_f64 v[4:5], v[2:3], v[8:9], -v[4:5]
	v_add_co_u32 v8, vcc_lo, 0x1000, v16
	v_add_co_ci_u32_e32 v9, vcc_lo, 0, v17, vcc_lo
	v_mul_f64 v[2:3], v[6:7], s[2:3]
	s_delay_alu instid0(VALU_DEP_4) | instskip(SKIP_1) | instid1(VALU_DEP_1)
	v_mul_f64 v[4:5], v[4:5], s[2:3]
	v_mad_u64_u32 v[6:7], null, 0xffff9b80, s4, v[0:1]
	v_add_nc_u32_e32 v7, s0, v7
	global_store_b128 v[6:7], v[2:5], off
	global_load_b128 v[0:3], v[8:9], off offset:896
	s_waitcnt vmcnt(0) lgkmcnt(0)
	v_mul_f64 v[4:5], v[12:13], v[2:3]
	v_mul_f64 v[2:3], v[10:11], v[2:3]
	s_delay_alu instid0(VALU_DEP_2) | instskip(NEXT) | instid1(VALU_DEP_2)
	v_fma_f64 v[4:5], v[10:11], v[0:1], v[4:5]
	v_fma_f64 v[2:3], v[0:1], v[12:13], -v[2:3]
	v_add_co_u32 v12, vcc_lo, v6, s6
	v_add_co_ci_u32_e32 v13, vcc_lo, s7, v7, vcc_lo
	s_delay_alu instid0(VALU_DEP_4) | instskip(NEXT) | instid1(VALU_DEP_4)
	v_mul_f64 v[0:1], v[4:5], s[2:3]
	v_mul_f64 v[2:3], v[2:3], s[2:3]
	global_store_b128 v[12:13], v[0:3], off
	global_load_b128 v[0:3], v[8:9], off offset:3968
	ds_load_b128 v[4:7], v18 offset:8064
	ds_load_b128 v[8:11], v18 offset:11136
	s_waitcnt vmcnt(0) lgkmcnt(1)
	v_mul_f64 v[14:15], v[6:7], v[2:3]
	v_mul_f64 v[2:3], v[4:5], v[2:3]
	s_delay_alu instid0(VALU_DEP_2) | instskip(NEXT) | instid1(VALU_DEP_2)
	v_fma_f64 v[4:5], v[4:5], v[0:1], v[14:15]
	v_fma_f64 v[2:3], v[0:1], v[6:7], -v[2:3]
	s_delay_alu instid0(VALU_DEP_2) | instskip(NEXT) | instid1(VALU_DEP_2)
	v_mul_f64 v[0:1], v[4:5], s[2:3]
	v_mul_f64 v[2:3], v[2:3], s[2:3]
	v_add_co_u32 v4, vcc_lo, v12, s6
	v_add_co_ci_u32_e32 v5, vcc_lo, s7, v13, vcc_lo
	s_delay_alu instid0(VALU_DEP_2) | instskip(NEXT) | instid1(VALU_DEP_2)
	v_add_co_u32 v12, vcc_lo, v4, s6
	v_add_co_ci_u32_e32 v13, vcc_lo, s7, v5, vcc_lo
	global_store_b128 v[4:5], v[0:3], off
	scratch_load_b64 v[0:1], off, off offset:12 ; 8-byte Folded Reload
	s_waitcnt vmcnt(0)
	global_load_b128 v[0:3], v[0:1], off offset:2944
	s_waitcnt vmcnt(0) lgkmcnt(0)
	v_mul_f64 v[6:7], v[10:11], v[2:3]
	v_mul_f64 v[2:3], v[8:9], v[2:3]
	s_delay_alu instid0(VALU_DEP_2) | instskip(NEXT) | instid1(VALU_DEP_2)
	v_fma_f64 v[6:7], v[8:9], v[0:1], v[6:7]
	v_fma_f64 v[2:3], v[0:1], v[10:11], -v[2:3]
	s_delay_alu instid0(VALU_DEP_2) | instskip(NEXT) | instid1(VALU_DEP_2)
	v_mul_f64 v[0:1], v[6:7], s[2:3]
	v_mul_f64 v[2:3], v[2:3], s[2:3]
	global_store_b128 v[12:13], v[0:3], off
	scratch_load_b64 v[0:1], off, off offset:48 ; 8-byte Folded Reload
	s_waitcnt vmcnt(0)
	global_load_b128 v[0:3], v[0:1], off offset:1920
	ds_load_b128 v[4:7], v18 offset:14208
	ds_load_b128 v[8:11], v18 offset:17280
	s_waitcnt vmcnt(0) lgkmcnt(1)
	v_mul_f64 v[14:15], v[6:7], v[2:3]
	v_mul_f64 v[2:3], v[4:5], v[2:3]
	s_delay_alu instid0(VALU_DEP_2) | instskip(NEXT) | instid1(VALU_DEP_2)
	v_fma_f64 v[4:5], v[4:5], v[0:1], v[14:15]
	v_fma_f64 v[2:3], v[0:1], v[6:7], -v[2:3]
	s_delay_alu instid0(VALU_DEP_2) | instskip(NEXT) | instid1(VALU_DEP_2)
	v_mul_f64 v[0:1], v[4:5], s[2:3]
	v_mul_f64 v[2:3], v[2:3], s[2:3]
	v_add_co_u32 v4, vcc_lo, v12, s6
	v_add_co_ci_u32_e32 v5, vcc_lo, s7, v13, vcc_lo
	v_add_co_u32 v6, vcc_lo, 0x4000, v16
	v_add_co_ci_u32_e32 v7, vcc_lo, 0, v17, vcc_lo
	global_store_b128 v[4:5], v[0:3], off
	global_load_b128 v[0:3], v[6:7], off offset:896
	s_waitcnt vmcnt(0) lgkmcnt(0)
	v_mul_f64 v[12:13], v[10:11], v[2:3]
	v_mul_f64 v[2:3], v[8:9], v[2:3]
	s_delay_alu instid0(VALU_DEP_2) | instskip(NEXT) | instid1(VALU_DEP_2)
	v_fma_f64 v[8:9], v[8:9], v[0:1], v[12:13]
	v_fma_f64 v[2:3], v[0:1], v[10:11], -v[2:3]
	v_add_co_u32 v12, vcc_lo, v4, s6
	v_add_co_ci_u32_e32 v13, vcc_lo, s7, v5, vcc_lo
	s_delay_alu instid0(VALU_DEP_4) | instskip(NEXT) | instid1(VALU_DEP_4)
	v_mul_f64 v[0:1], v[8:9], s[2:3]
	v_mul_f64 v[2:3], v[2:3], s[2:3]
	global_store_b128 v[12:13], v[0:3], off
	global_load_b128 v[0:3], v[6:7], off offset:3968
	ds_load_b128 v[4:7], v18 offset:20352
	ds_load_b128 v[8:11], v18 offset:23424
	s_waitcnt vmcnt(0) lgkmcnt(1)
	v_mul_f64 v[14:15], v[6:7], v[2:3]
	v_mul_f64 v[2:3], v[4:5], v[2:3]
	s_delay_alu instid0(VALU_DEP_2) | instskip(NEXT) | instid1(VALU_DEP_2)
	v_fma_f64 v[4:5], v[4:5], v[0:1], v[14:15]
	v_fma_f64 v[2:3], v[0:1], v[6:7], -v[2:3]
	s_delay_alu instid0(VALU_DEP_2) | instskip(NEXT) | instid1(VALU_DEP_2)
	v_mul_f64 v[0:1], v[4:5], s[2:3]
	v_mul_f64 v[2:3], v[2:3], s[2:3]
	v_add_co_u32 v4, vcc_lo, v12, s6
	v_add_co_ci_u32_e32 v5, vcc_lo, s7, v13, vcc_lo
	s_delay_alu instid0(VALU_DEP_2) | instskip(NEXT) | instid1(VALU_DEP_2)
	v_add_co_u32 v12, vcc_lo, v4, s6
	v_add_co_ci_u32_e32 v13, vcc_lo, s7, v5, vcc_lo
	global_store_b128 v[4:5], v[0:3], off
	scratch_load_b64 v[0:1], off, off offset:28 ; 8-byte Folded Reload
	s_waitcnt vmcnt(0)
	global_load_b128 v[0:3], v[0:1], off offset:2944
	s_waitcnt vmcnt(0) lgkmcnt(0)
	v_mul_f64 v[6:7], v[10:11], v[2:3]
	v_mul_f64 v[2:3], v[8:9], v[2:3]
	s_delay_alu instid0(VALU_DEP_2) | instskip(NEXT) | instid1(VALU_DEP_2)
	v_fma_f64 v[6:7], v[8:9], v[0:1], v[6:7]
	v_fma_f64 v[2:3], v[0:1], v[10:11], -v[2:3]
	s_delay_alu instid0(VALU_DEP_2) | instskip(NEXT) | instid1(VALU_DEP_2)
	v_mul_f64 v[0:1], v[6:7], s[2:3]
	v_mul_f64 v[2:3], v[2:3], s[2:3]
	global_store_b128 v[12:13], v[0:3], off
	scratch_load_b64 v[0:1], off, off offset:36 ; 8-byte Folded Reload
	s_waitcnt vmcnt(0)
	global_load_b128 v[0:3], v[0:1], off offset:1920
	ds_load_b128 v[4:7], v18 offset:26496
	ds_load_b128 v[8:11], v18 offset:29568
	s_waitcnt vmcnt(0) lgkmcnt(1)
	v_mul_f64 v[14:15], v[6:7], v[2:3]
	v_mul_f64 v[2:3], v[4:5], v[2:3]
	s_delay_alu instid0(VALU_DEP_2) | instskip(NEXT) | instid1(VALU_DEP_2)
	v_fma_f64 v[4:5], v[4:5], v[0:1], v[14:15]
	v_fma_f64 v[2:3], v[0:1], v[6:7], -v[2:3]
	s_delay_alu instid0(VALU_DEP_2) | instskip(NEXT) | instid1(VALU_DEP_2)
	v_mul_f64 v[0:1], v[4:5], s[2:3]
	v_mul_f64 v[2:3], v[2:3], s[2:3]
	v_add_co_u32 v4, vcc_lo, v12, s6
	v_add_co_ci_u32_e32 v5, vcc_lo, s7, v13, vcc_lo
	v_add_co_u32 v6, vcc_lo, 0x7000, v16
	v_add_co_ci_u32_e32 v7, vcc_lo, 0, v17, vcc_lo
	global_store_b128 v[4:5], v[0:3], off
	global_load_b128 v[0:3], v[6:7], off offset:896
	v_add_co_u32 v4, vcc_lo, v4, s6
	v_add_co_ci_u32_e32 v5, vcc_lo, s7, v5, vcc_lo
	s_waitcnt vmcnt(0) lgkmcnt(0)
	v_mul_f64 v[6:7], v[10:11], v[2:3]
	v_mul_f64 v[2:3], v[8:9], v[2:3]
	s_delay_alu instid0(VALU_DEP_2) | instskip(NEXT) | instid1(VALU_DEP_2)
	v_fma_f64 v[6:7], v[8:9], v[0:1], v[6:7]
	v_fma_f64 v[2:3], v[0:1], v[10:11], -v[2:3]
	s_delay_alu instid0(VALU_DEP_2) | instskip(NEXT) | instid1(VALU_DEP_2)
	v_mul_f64 v[0:1], v[6:7], s[2:3]
	v_mul_f64 v[2:3], v[2:3], s[2:3]
	global_store_b128 v[4:5], v[0:3], off
.LBB0_23:
	s_nop 0
	s_sendmsg sendmsg(MSG_DEALLOC_VGPRS)
	s_endpgm
	.section	.rodata,"a",@progbits
	.p2align	6, 0x0
	.amdhsa_kernel bluestein_single_back_len1920_dim1_dp_op_CI_CI
		.amdhsa_group_segment_fixed_size 61440
		.amdhsa_private_segment_fixed_size 372
		.amdhsa_kernarg_size 104
		.amdhsa_user_sgpr_count 15
		.amdhsa_user_sgpr_dispatch_ptr 0
		.amdhsa_user_sgpr_queue_ptr 0
		.amdhsa_user_sgpr_kernarg_segment_ptr 1
		.amdhsa_user_sgpr_dispatch_id 0
		.amdhsa_user_sgpr_private_segment_size 0
		.amdhsa_wavefront_size32 1
		.amdhsa_uses_dynamic_stack 0
		.amdhsa_enable_private_segment 1
		.amdhsa_system_sgpr_workgroup_id_x 1
		.amdhsa_system_sgpr_workgroup_id_y 0
		.amdhsa_system_sgpr_workgroup_id_z 0
		.amdhsa_system_sgpr_workgroup_info 0
		.amdhsa_system_vgpr_workitem_id 0
		.amdhsa_next_free_vgpr 256
		.amdhsa_next_free_sgpr 24
		.amdhsa_reserve_vcc 1
		.amdhsa_float_round_mode_32 0
		.amdhsa_float_round_mode_16_64 0
		.amdhsa_float_denorm_mode_32 3
		.amdhsa_float_denorm_mode_16_64 3
		.amdhsa_dx10_clamp 1
		.amdhsa_ieee_mode 1
		.amdhsa_fp16_overflow 0
		.amdhsa_workgroup_processor_mode 1
		.amdhsa_memory_ordered 1
		.amdhsa_forward_progress 0
		.amdhsa_shared_vgpr_count 0
		.amdhsa_exception_fp_ieee_invalid_op 0
		.amdhsa_exception_fp_denorm_src 0
		.amdhsa_exception_fp_ieee_div_zero 0
		.amdhsa_exception_fp_ieee_overflow 0
		.amdhsa_exception_fp_ieee_underflow 0
		.amdhsa_exception_fp_ieee_inexact 0
		.amdhsa_exception_int_div_zero 0
	.end_amdhsa_kernel
	.text
.Lfunc_end0:
	.size	bluestein_single_back_len1920_dim1_dp_op_CI_CI, .Lfunc_end0-bluestein_single_back_len1920_dim1_dp_op_CI_CI
                                        ; -- End function
	.section	.AMDGPU.csdata,"",@progbits
; Kernel info:
; codeLenInByte = 24260
; NumSgprs: 26
; NumVgprs: 256
; ScratchSize: 372
; MemoryBound: 0
; FloatMode: 240
; IeeeMode: 1
; LDSByteSize: 61440 bytes/workgroup (compile time only)
; SGPRBlocks: 3
; VGPRBlocks: 31
; NumSGPRsForWavesPerEU: 26
; NumVGPRsForWavesPerEU: 256
; Occupancy: 4
; WaveLimiterHint : 1
; COMPUTE_PGM_RSRC2:SCRATCH_EN: 1
; COMPUTE_PGM_RSRC2:USER_SGPR: 15
; COMPUTE_PGM_RSRC2:TRAP_HANDLER: 0
; COMPUTE_PGM_RSRC2:TGID_X_EN: 1
; COMPUTE_PGM_RSRC2:TGID_Y_EN: 0
; COMPUTE_PGM_RSRC2:TGID_Z_EN: 0
; COMPUTE_PGM_RSRC2:TIDIG_COMP_CNT: 0
	.text
	.p2alignl 7, 3214868480
	.fill 96, 4, 3214868480
	.type	__hip_cuid_2db699a57c23b78,@object ; @__hip_cuid_2db699a57c23b78
	.section	.bss,"aw",@nobits
	.globl	__hip_cuid_2db699a57c23b78
__hip_cuid_2db699a57c23b78:
	.byte	0                               ; 0x0
	.size	__hip_cuid_2db699a57c23b78, 1

	.ident	"AMD clang version 19.0.0git (https://github.com/RadeonOpenCompute/llvm-project roc-6.4.0 25133 c7fe45cf4b819c5991fe208aaa96edf142730f1d)"
	.section	".note.GNU-stack","",@progbits
	.addrsig
	.addrsig_sym __hip_cuid_2db699a57c23b78
	.amdgpu_metadata
---
amdhsa.kernels:
  - .args:
      - .actual_access:  read_only
        .address_space:  global
        .offset:         0
        .size:           8
        .value_kind:     global_buffer
      - .actual_access:  read_only
        .address_space:  global
        .offset:         8
        .size:           8
        .value_kind:     global_buffer
      - .actual_access:  read_only
        .address_space:  global
        .offset:         16
        .size:           8
        .value_kind:     global_buffer
      - .actual_access:  read_only
        .address_space:  global
        .offset:         24
        .size:           8
        .value_kind:     global_buffer
      - .actual_access:  read_only
        .address_space:  global
        .offset:         32
        .size:           8
        .value_kind:     global_buffer
      - .offset:         40
        .size:           8
        .value_kind:     by_value
      - .address_space:  global
        .offset:         48
        .size:           8
        .value_kind:     global_buffer
      - .address_space:  global
        .offset:         56
        .size:           8
        .value_kind:     global_buffer
      - .address_space:  global
        .offset:         64
        .size:           8
        .value_kind:     global_buffer
      - .address_space:  global
        .offset:         72
        .size:           8
        .value_kind:     global_buffer
      - .offset:         80
        .size:           4
        .value_kind:     by_value
      - .address_space:  global
        .offset:         88
        .size:           8
        .value_kind:     global_buffer
      - .address_space:  global
        .offset:         96
        .size:           8
        .value_kind:     global_buffer
    .group_segment_fixed_size: 61440
    .kernarg_segment_align: 8
    .kernarg_segment_size: 104
    .language:       OpenCL C
    .language_version:
      - 2
      - 0
    .max_flat_workgroup_size: 240
    .name:           bluestein_single_back_len1920_dim1_dp_op_CI_CI
    .private_segment_fixed_size: 372
    .sgpr_count:     26
    .sgpr_spill_count: 0
    .symbol:         bluestein_single_back_len1920_dim1_dp_op_CI_CI.kd
    .uniform_work_group_size: 1
    .uses_dynamic_stack: false
    .vgpr_count:     256
    .vgpr_spill_count: 92
    .wavefront_size: 32
    .workgroup_processor_mode: 1
amdhsa.target:   amdgcn-amd-amdhsa--gfx1100
amdhsa.version:
  - 1
  - 2
...

	.end_amdgpu_metadata
